;; amdgpu-corpus repo=ROCm/rocFFT kind=compiled arch=gfx1030 opt=O3
	.text
	.amdgcn_target "amdgcn-amd-amdhsa--gfx1030"
	.amdhsa_code_object_version 6
	.protected	bluestein_single_back_len2000_dim1_half_op_CI_CI ; -- Begin function bluestein_single_back_len2000_dim1_half_op_CI_CI
	.globl	bluestein_single_back_len2000_dim1_half_op_CI_CI
	.p2align	8
	.type	bluestein_single_back_len2000_dim1_half_op_CI_CI,@function
bluestein_single_back_len2000_dim1_half_op_CI_CI: ; @bluestein_single_back_len2000_dim1_half_op_CI_CI
; %bb.0:
	s_load_dwordx4 s[12:15], s[4:5], 0x28
	v_mul_u32_u24_e32 v1, 0x20d, v0
	v_mov_b32_e32 v56, 0
	s_mov_b32 s0, exec_lo
	v_lshrrev_b32_e32 v1, 16, v1
	v_add_nc_u32_e32 v55, s6, v1
	s_waitcnt lgkmcnt(0)
	v_cmpx_gt_u64_e64 s[12:13], v[55:56]
	s_cbranch_execz .LBB0_31
; %bb.1:
	s_load_dwordx4 s[0:3], s[4:5], 0x18
	v_mul_lo_u16 v1, 0x7d, v1
	s_waitcnt lgkmcnt(0)
	s_load_dwordx4 s[8:11], s[0:1], 0x0
	s_load_dwordx2 s[6:7], s[4:5], 0x0
	v_sub_nc_u16 v7, v0, v1
	v_and_b32_e32 v83, 0xffff, v7
	v_lshlrev_b32_e32 v70, 2, v83
	s_waitcnt lgkmcnt(0)
	s_clause 0x1
	global_load_dword v86, v70, s[6:7]
	global_load_dword v85, v70, s[6:7] offset:1600
	v_mad_u64_u32 v[0:1], null, s10, v55, 0
	v_mad_u64_u32 v[2:3], null, s8, v83, 0
	v_add_co_u32 v53, s0, s6, v70
	v_add_co_ci_u32_e64 v54, null, s7, 0, s0
	s_mul_i32 s1, s9, 0x190
	v_add_co_u32 v51, vcc_lo, 0x800, v53
	v_mad_u64_u32 v[4:5], null, s11, v55, v[1:2]
	v_mov_b32_e32 v1, v3
	v_add_co_ci_u32_e32 v52, vcc_lo, 0, v54, vcc_lo
	v_add_co_u32 v49, vcc_lo, 0x1000, v53
	v_mad_u64_u32 v[5:6], null, s9, v83, v[1:2]
	v_mov_b32_e32 v1, v4
	v_add_co_ci_u32_e32 v50, vcc_lo, 0, v54, vcc_lo
	v_add_co_u32 v47, vcc_lo, 0x1800, v53
	v_lshlrev_b64 v[0:1], 2, v[0:1]
	v_mov_b32_e32 v3, v5
	v_add_co_ci_u32_e32 v48, vcc_lo, 0, v54, vcc_lo
	s_mul_hi_u32 s10, s8, 0x190
	s_mul_i32 s0, s8, 0x190
	v_lshlrev_b64 v[2:3], 2, v[2:3]
	v_add_co_u32 v0, vcc_lo, s14, v0
	v_add_co_ci_u32_e32 v1, vcc_lo, s15, v1, vcc_lo
	s_add_i32 s1, s10, s1
	v_add_co_u32 v0, vcc_lo, v0, v2
	v_add_co_ci_u32_e32 v1, vcc_lo, v1, v3, vcc_lo
	s_lshl_b64 s[12:13], s[0:1], 2
	s_clause 0x1
	global_load_dword v84, v[51:52], off offset:1152
	global_load_dword v82, v[49:50], off offset:704
	v_add_co_u32 v2, vcc_lo, v0, s12
	v_add_co_ci_u32_e32 v3, vcc_lo, s13, v1, vcc_lo
	global_load_dword v5, v[0:1], off
	s_mul_i32 s1, s9, 0xfffffa3d
	s_mul_hi_u32 s9, s8, 0xfffffa3d
	global_load_dword v6, v[2:3], off
	v_add_co_u32 v0, vcc_lo, v2, s12
	v_add_co_ci_u32_e32 v1, vcc_lo, s13, v3, vcc_lo
	s_mul_i32 s0, s8, 0xfffffa3d
	s_sub_i32 s8, s9, s8
	global_load_dword v81, v[47:48], off offset:256
	global_load_dword v8, v[0:1], off
	v_add_co_u32 v0, vcc_lo, v0, s12
	v_add_co_ci_u32_e32 v1, vcc_lo, s13, v1, vcc_lo
	s_add_i32 s1, s8, s1
	v_add_co_u32 v2, vcc_lo, v0, s12
	v_add_co_ci_u32_e32 v3, vcc_lo, s13, v1, vcc_lo
	s_lshl_b64 s[0:1], s[0:1], 2
	global_load_dword v9, v[0:1], off
	global_load_dword v80, v70, s[6:7] offset:500
	global_load_dword v10, v[2:3], off
	v_add_co_u32 v0, vcc_lo, v2, s0
	v_add_co_ci_u32_e32 v1, vcc_lo, s1, v3, vcc_lo
	v_add_nc_u32_e32 v4, 0x800, v70
	v_add_co_u32 v2, vcc_lo, v0, s12
	v_add_co_ci_u32_e32 v3, vcc_lo, s13, v1, vcc_lo
	global_load_dword v11, v[0:1], off
	s_clause 0x2
	global_load_dword v75, v70, s[6:7] offset:1000
	global_load_dword v79, v[51:52], off offset:52
	global_load_dword v78, v[51:52], off offset:1652
	global_load_dword v12, v[2:3], off
	v_add_co_u32 v0, vcc_lo, v2, s12
	v_add_co_ci_u32_e32 v1, vcc_lo, s13, v3, vcc_lo
	global_load_dword v76, v[47:48], off offset:756
	v_add_co_u32 v2, vcc_lo, v0, s12
	v_add_co_ci_u32_e32 v3, vcc_lo, s13, v1, vcc_lo
	global_load_dword v13, v[0:1], off
	v_add_co_u32 v0, vcc_lo, v2, s12
	v_add_co_ci_u32_e32 v1, vcc_lo, s13, v3, vcc_lo
	s_clause 0x1
	global_load_dword v77, v[49:50], off offset:1204
	global_load_dword v72, v[49:50], off offset:1704
	global_load_dword v15, v[2:3], off
	global_load_dword v73, v[49:50], off offset:104
	global_load_dword v16, v[0:1], off
	v_add_co_u32 v0, vcc_lo, v0, s0
	v_add_co_ci_u32_e32 v1, vcc_lo, s1, v1, vcc_lo
	global_load_dword v74, v[51:52], off offset:552
	v_add_co_u32 v2, vcc_lo, v0, s12
	v_add_co_ci_u32_e32 v3, vcc_lo, s13, v1, vcc_lo
	global_load_dword v17, v[0:1], off
	v_add_co_u32 v0, vcc_lo, v2, s12
	v_add_co_ci_u32_e32 v1, vcc_lo, s13, v3, vcc_lo
	global_load_dword v18, v[2:3], off
	;; [unrolled: 3-line block ×4, first 2 shown]
	global_load_dword v3, v[0:1], off
	global_load_dword v71, v[47:48], off offset:1256
	s_load_dwordx2 s[6:7], s[4:5], 0x38
	s_load_dwordx4 s[8:11], s[2:3], 0x0
	v_add_nc_u32_e32 v14, 0x1400, v70
	v_cmp_gt_u16_e32 vcc_lo, 25, v7
	v_add_nc_u32_e32 v21, 0xe00, v70
	s_waitcnt vmcnt(25)
	v_lshrrev_b32_e32 v20, 16, v5
	v_mul_f16_sdwa v22, v86, v5 dst_sel:DWORD dst_unused:UNUSED_PAD src0_sel:WORD_1 src1_sel:DWORD
	s_waitcnt vmcnt(24)
	v_lshrrev_b32_e32 v24, 16, v6
	v_mul_f16_sdwa v25, v85, v6 dst_sel:DWORD dst_unused:UNUSED_PAD src0_sel:WORD_1 src1_sel:DWORD
	v_mul_f16_sdwa v23, v86, v20 dst_sel:DWORD dst_unused:UNUSED_PAD src0_sel:WORD_1 src1_sel:DWORD
	v_fma_f16 v20, v86, v20, -v22
	v_fmac_f16_e32 v23, v86, v5
	v_mul_f16_sdwa v5, v85, v24 dst_sel:DWORD dst_unused:UNUSED_PAD src0_sel:WORD_1 src1_sel:DWORD
	s_waitcnt vmcnt(22)
	v_lshrrev_b32_e32 v22, 16, v8
	v_fma_f16 v24, v85, v24, -v25
	v_mul_f16_sdwa v25, v84, v8 dst_sel:DWORD dst_unused:UNUSED_PAD src0_sel:WORD_1 src1_sel:DWORD
	v_pack_b32_f16 v20, v23, v20
	v_fmac_f16_e32 v5, v85, v6
	v_mul_f16_sdwa v6, v84, v22 dst_sel:DWORD dst_unused:UNUSED_PAD src0_sel:WORD_1 src1_sel:DWORD
	v_fma_f16 v22, v84, v22, -v25
	v_pack_b32_f16 v5, v5, v24
	s_waitcnt vmcnt(21)
	v_lshrrev_b32_e32 v23, 16, v9
	v_mul_f16_sdwa v26, v82, v9 dst_sel:DWORD dst_unused:UNUSED_PAD src0_sel:WORD_1 src1_sel:DWORD
	v_fmac_f16_e32 v6, v84, v8
	s_waitcnt vmcnt(19)
	v_lshrrev_b32_e32 v24, 16, v10
	v_mul_f16_sdwa v25, v81, v10 dst_sel:DWORD dst_unused:UNUSED_PAD src0_sel:WORD_1 src1_sel:DWORD
	v_mul_f16_sdwa v8, v82, v23 dst_sel:DWORD dst_unused:UNUSED_PAD src0_sel:WORD_1 src1_sel:DWORD
	v_fma_f16 v23, v82, v23, -v26
	ds_write_b32 v70, v5 offset:1600
	v_pack_b32_f16 v5, v6, v22
	v_mul_f16_sdwa v6, v81, v24 dst_sel:DWORD dst_unused:UNUSED_PAD src0_sel:WORD_1 src1_sel:DWORD
	v_fmac_f16_e32 v8, v82, v9
	v_fma_f16 v9, v81, v24, -v25
	s_waitcnt vmcnt(18)
	v_lshrrev_b32_e32 v22, 16, v11
	v_mul_f16_sdwa v24, v80, v11 dst_sel:DWORD dst_unused:UNUSED_PAD src0_sel:WORD_1 src1_sel:DWORD
	ds_write_b32 v70, v5 offset:3200
	v_pack_b32_f16 v5, v8, v23
	v_fmac_f16_e32 v6, v81, v10
	v_mul_f16_sdwa v8, v80, v22 dst_sel:DWORD dst_unused:UNUSED_PAD src0_sel:WORD_1 src1_sel:DWORD
	v_fma_f16 v10, v80, v22, -v24
	s_waitcnt vmcnt(14)
	v_lshrrev_b32_e32 v22, 16, v12
	v_mul_f16_sdwa v23, v79, v12 dst_sel:DWORD dst_unused:UNUSED_PAD src0_sel:WORD_1 src1_sel:DWORD
	ds_write_b32 v70, v5 offset:4800
	v_pack_b32_f16 v5, v6, v9
	v_fmac_f16_e32 v8, v80, v11
	v_mul_f16_sdwa v6, v79, v22 dst_sel:DWORD dst_unused:UNUSED_PAD src0_sel:WORD_1 src1_sel:DWORD
	;; [unrolled: 8-line block ×3, first 2 shown]
	v_fma_f16 v10, v78, v11, -v22
	s_waitcnt vmcnt(9)
	v_lshrrev_b32_e32 v11, 16, v15
	v_mul_f16_sdwa v12, v77, v15 dst_sel:DWORD dst_unused:UNUSED_PAD src0_sel:WORD_1 src1_sel:DWORD
	ds_write2_b32 v70, v20, v5 offset1:125
	v_pack_b32_f16 v5, v6, v9
	v_fmac_f16_e32 v8, v78, v13
	v_mul_f16_sdwa v6, v77, v11 dst_sel:DWORD dst_unused:UNUSED_PAD src0_sel:WORD_1 src1_sel:DWORD
	s_waitcnt vmcnt(7)
	v_lshrrev_b32_e32 v9, 16, v16
	v_fma_f16 v11, v77, v11, -v12
	v_mul_f16_sdwa v12, v76, v16 dst_sel:DWORD dst_unused:UNUSED_PAD src0_sel:WORD_1 src1_sel:DWORD
	s_waitcnt vmcnt(5)
	v_lshrrev_b32_e32 v13, 16, v17
	v_fmac_f16_e32 v6, v77, v15
	v_pack_b32_f16 v8, v8, v10
	v_mul_f16_sdwa v10, v76, v9 dst_sel:DWORD dst_unused:UNUSED_PAD src0_sel:WORD_1 src1_sel:DWORD
	v_fma_f16 v9, v76, v9, -v12
	v_mul_f16_sdwa v12, v75, v17 dst_sel:DWORD dst_unused:UNUSED_PAD src0_sel:WORD_1 src1_sel:DWORD
	v_pack_b32_f16 v6, v6, v11
	v_mul_f16_sdwa v11, v75, v13 dst_sel:DWORD dst_unused:UNUSED_PAD src0_sel:WORD_1 src1_sel:DWORD
	v_fmac_f16_e32 v10, v76, v16
	s_waitcnt vmcnt(4)
	v_lshrrev_b32_e32 v15, 16, v18
	v_mul_f16_sdwa v16, v74, v18 dst_sel:DWORD dst_unused:UNUSED_PAD src0_sel:WORD_1 src1_sel:DWORD
	v_fma_f16 v12, v75, v13, -v12
	v_fmac_f16_e32 v11, v75, v17
	v_pack_b32_f16 v9, v10, v9
	v_mul_f16_sdwa v10, v74, v15 dst_sel:DWORD dst_unused:UNUSED_PAD src0_sel:WORD_1 src1_sel:DWORD
	v_fma_f16 v13, v74, v15, -v16
	s_waitcnt vmcnt(3)
	v_lshrrev_b32_e32 v15, 16, v19
	v_mul_f16_sdwa v16, v73, v19 dst_sel:DWORD dst_unused:UNUSED_PAD src0_sel:WORD_1 src1_sel:DWORD
	v_pack_b32_f16 v11, v11, v12
	s_waitcnt vmcnt(2)
	v_lshrrev_b32_e32 v12, 16, v2
	v_fmac_f16_e32 v10, v74, v18
	s_waitcnt vmcnt(1)
	v_lshrrev_b32_e32 v18, 16, v3
	v_mul_f16_sdwa v17, v73, v15 dst_sel:DWORD dst_unused:UNUSED_PAD src0_sel:WORD_1 src1_sel:DWORD
	v_fma_f16 v15, v73, v15, -v16
	v_mul_f16_sdwa v16, v72, v2 dst_sel:DWORD dst_unused:UNUSED_PAD src0_sel:WORD_1 src1_sel:DWORD
	v_mul_f16_sdwa v20, v72, v12 dst_sel:DWORD dst_unused:UNUSED_PAD src0_sel:WORD_1 src1_sel:DWORD
	s_waitcnt vmcnt(0)
	v_mul_f16_sdwa v22, v71, v3 dst_sel:DWORD dst_unused:UNUSED_PAD src0_sel:WORD_1 src1_sel:DWORD
	v_mul_f16_sdwa v23, v71, v18 dst_sel:DWORD dst_unused:UNUSED_PAD src0_sel:WORD_1 src1_sel:DWORD
	v_fmac_f16_e32 v17, v73, v19
	v_fma_f16 v12, v72, v12, -v16
	v_fmac_f16_e32 v20, v72, v2
	v_fma_f16 v2, v71, v18, -v22
	v_fmac_f16_e32 v23, v71, v3
	v_pack_b32_f16 v3, v10, v13
	v_pack_b32_f16 v10, v17, v15
	ds_write_b32 v70, v11 offset:1000
	v_pack_b32_f16 v11, v20, v12
	v_pack_b32_f16 v2, v23, v2
	v_add_nc_u32_e32 v12, 0x1a00, v70
	ds_write2_b32 v4, v5, v3 offset0:13 offset1:138
	ds_write2_b32 v21, v8, v10 offset0:29 offset1:154
	;; [unrolled: 1-line block ×4, first 2 shown]
	s_and_saveexec_b32 s2, vcc_lo
	s_cbranch_execz .LBB0_3
; %bb.2:
	v_add_co_u32 v0, s0, v0, s0
	v_add_co_ci_u32_e64 v1, s0, s1, v1, s0
	v_add_co_u32 v2, s0, v0, s12
	v_add_co_ci_u32_e64 v3, s0, s13, v1, s0
	global_load_dword v7, v[53:54], off offset:1500
	global_load_dword v8, v[0:1], off
	global_load_dword v9, v[2:3], off
	v_add_co_u32 v0, s0, v2, s12
	v_add_co_ci_u32_e64 v1, s0, s13, v3, s0
	global_load_dword v10, v[51:52], off offset:1052
	v_add_co_u32 v2, s0, v0, s12
	v_add_co_ci_u32_e64 v3, s0, s13, v1, s0
	v_add_co_u32 v5, s0, v2, s12
	v_add_co_ci_u32_e64 v6, s0, s13, v3, s0
	global_load_dword v0, v[0:1], off
	global_load_dword v1, v[49:50], off offset:604
	global_load_dword v2, v[2:3], off
	global_load_dword v3, v[5:6], off
	s_clause 0x1
	global_load_dword v5, v[47:48], off offset:156
	global_load_dword v6, v[47:48], off offset:1756
	s_waitcnt vmcnt(8)
	v_lshrrev_b32_e32 v11, 16, v8
	v_mul_f16_sdwa v12, v7, v8 dst_sel:DWORD dst_unused:UNUSED_PAD src0_sel:WORD_1 src1_sel:DWORD
	s_waitcnt vmcnt(7)
	v_lshrrev_b32_e32 v13, 16, v9
	v_mul_f16_sdwa v15, v7, v11 dst_sel:DWORD dst_unused:UNUSED_PAD src0_sel:WORD_1 src1_sel:DWORD
	s_waitcnt vmcnt(6)
	v_mul_f16_sdwa v16, v10, v9 dst_sel:DWORD dst_unused:UNUSED_PAD src0_sel:WORD_1 src1_sel:DWORD
	v_fma_f16 v11, v7, v11, -v12
	v_mul_f16_sdwa v12, v10, v13 dst_sel:DWORD dst_unused:UNUSED_PAD src0_sel:WORD_1 src1_sel:DWORD
	v_fmac_f16_e32 v15, v7, v8
	s_waitcnt vmcnt(5)
	v_lshrrev_b32_e32 v8, 16, v0
	v_fma_f16 v7, v10, v13, -v16
	s_waitcnt vmcnt(4)
	v_mul_f16_sdwa v13, v1, v0 dst_sel:DWORD dst_unused:UNUSED_PAD src0_sel:WORD_1 src1_sel:DWORD
	v_fmac_f16_e32 v12, v10, v9
	s_waitcnt vmcnt(3)
	v_lshrrev_b32_e32 v9, 16, v2
	s_waitcnt vmcnt(2)
	v_lshrrev_b32_e32 v10, 16, v3
	v_mul_f16_sdwa v16, v1, v8 dst_sel:DWORD dst_unused:UNUSED_PAD src0_sel:WORD_1 src1_sel:DWORD
	v_fma_f16 v8, v1, v8, -v13
	s_waitcnt vmcnt(1)
	v_mul_f16_sdwa v13, v5, v2 dst_sel:DWORD dst_unused:UNUSED_PAD src0_sel:WORD_1 src1_sel:DWORD
	v_mul_f16_sdwa v17, v5, v9 dst_sel:DWORD dst_unused:UNUSED_PAD src0_sel:WORD_1 src1_sel:DWORD
	s_waitcnt vmcnt(0)
	v_mul_f16_sdwa v18, v6, v10 dst_sel:DWORD dst_unused:UNUSED_PAD src0_sel:WORD_1 src1_sel:DWORD
	v_mul_f16_sdwa v19, v6, v3 dst_sel:DWORD dst_unused:UNUSED_PAD src0_sel:WORD_1 src1_sel:DWORD
	v_fmac_f16_e32 v16, v1, v0
	v_fma_f16 v0, v5, v9, -v13
	v_fmac_f16_e32 v17, v5, v2
	v_fmac_f16_e32 v18, v6, v3
	v_fma_f16 v1, v6, v10, -v19
	v_pack_b32_f16 v2, v15, v11
	v_pack_b32_f16 v3, v12, v7
	;; [unrolled: 1-line block ×5, first 2 shown]
	ds_write_b32 v70, v2 offset:1500
	ds_write_b32 v70, v3 offset:3100
	;; [unrolled: 1-line block ×5, first 2 shown]
.LBB0_3:
	s_or_b32 exec_lo, exec_lo, s2
	v_add_nc_u32_e32 v0, 0x300, v70
	v_add_nc_u32_e32 v1, 0xc00, v70
	;; [unrolled: 1-line block ×4, first 2 shown]
	s_waitcnt lgkmcnt(0)
	s_barrier
	buffer_gl0_inv
	ds_read2_b32 v[12:13], v70 offset1:125
	ds_read2_b32 v[6:7], v0 offset0:58 offset1:208
	ds_read2_b32 v[10:11], v1 offset0:32 offset1:157
	ds_read2_b32 v[2:3], v2 offset0:26 offset1:176
	ds_read2_b32 v[8:9], v5 offset0:64 offset1:189
	ds_read2_b32 v[4:5], v4 offset0:13 offset1:138
	ds_read2_b32 v[0:1], v14 offset0:45 offset1:170
	ds_read_b32 v14, v70 offset:7400
                                        ; implicit-def: $vgpr16
                                        ; implicit-def: $vgpr17
                                        ; implicit-def: $vgpr18
                                        ; implicit-def: $vgpr15
                                        ; implicit-def: $vgpr19
	s_and_saveexec_b32 s0, vcc_lo
	s_cbranch_execz .LBB0_5
; %bb.4:
	ds_read_b32 v19, v70 offset:1500
	ds_read_b32 v17, v70 offset:3100
	;; [unrolled: 1-line block ×5, first 2 shown]
.LBB0_5:
	s_or_b32 exec_lo, exec_lo, s0
	s_waitcnt lgkmcnt(0)
	v_pk_add_f16 v23, v17, v15 neg_lo:[0,1] neg_hi:[0,1]
	v_pk_add_f16 v26, v16, v18
	v_pk_add_f16 v24, v16, v18 neg_lo:[0,1] neg_hi:[0,1]
	v_pk_add_f16 v25, v17, v19
	v_pk_add_f16 v27, v17, v15
	v_pk_mul_f16 v31, 0x3b9c, v23 op_sel_hi:[0,1]
	v_pk_fma_f16 v26, v26, 0.5, v19 op_sel_hi:[1,0,1] neg_lo:[1,0,0] neg_hi:[1,0,0]
	v_pk_add_f16 v28, v16, v17 neg_lo:[0,1] neg_hi:[0,1]
	v_pk_add_f16 v25, v16, v25
	v_pk_fma_f16 v19, v27, 0.5, v19 op_sel_hi:[1,0,1] neg_lo:[1,0,0] neg_hi:[1,0,0]
	v_pk_mul_f16 v27, 0x3b9c, v24 op_sel_hi:[0,1]
	v_pk_mul_f16 v24, 0x38b4, v24 op_sel_hi:[0,1]
	v_pk_add_f16 v32, v26, v31 op_sel:[0,1] op_sel_hi:[1,0] neg_lo:[0,1] neg_hi:[0,1]
	v_pk_add_f16 v26, v26, v31 op_sel:[0,1] op_sel_hi:[1,0]
	v_pk_add_f16 v29, v18, v15 neg_lo:[0,1] neg_hi:[0,1]
	v_pk_add_f16 v25, v18, v25
	v_pk_add_f16 v16, v17, v16 neg_lo:[0,1] neg_hi:[0,1]
	v_pk_add_f16 v17, v15, v18 neg_lo:[0,1] neg_hi:[0,1]
	v_pk_add_f16 v18, v32, v24 op_sel:[0,1] op_sel_hi:[1,0] neg_lo:[0,1] neg_hi:[0,1]
	v_pk_add_f16 v24, v26, v24 op_sel:[0,1] op_sel_hi:[1,0]
	v_pk_add_f16 v31, v19, v27 op_sel:[0,1] op_sel_hi:[1,0] neg_lo:[0,1] neg_hi:[0,1]
	v_pk_mul_f16 v23, 0x38b4, v23 op_sel_hi:[0,1]
	v_pk_add_f16 v19, v27, v19 op_sel:[1,0] op_sel_hi:[0,1]
	v_pk_add_f16 v16, v16, v17
	v_bfi_b32 v17, 0xffff, v24, v18
	v_bfi_b32 v18, 0xffff, v18, v24
	v_pk_add_f16 v27, v28, v29
	v_pk_add_f16 v19, v19, v23 op_sel:[0,1] op_sel_hi:[1,0] neg_lo:[0,1] neg_hi:[0,1]
	v_add_co_u32 v30, s2, 0x7d, v83
	v_pk_fma_f16 v32, 0x34f2, v16, v17 op_sel_hi:[0,1,1]
	v_pk_fma_f16 v34, 0x34f2, v16, v18 op_sel_hi:[0,1,1]
	v_pk_add_f16 v16, v10, v3
	v_pk_add_f16 v17, v7, v8 neg_lo:[0,1] neg_hi:[0,1]
	v_pk_add_f16 v26, v23, v31 op_sel:[1,0] op_sel_hi:[0,1]
	v_pk_add_f16 v31, v15, v25
	v_pk_fma_f16 v36, 0x34f2, v27, v19 op_sel_hi:[0,1,1]
	v_pk_add_f16 v19, v10, v3 neg_lo:[0,1] neg_hi:[0,1]
	v_pk_fma_f16 v16, v16, 0.5, v12 op_sel_hi:[1,0,1] neg_lo:[1,0,0] neg_hi:[1,0,0]
	v_pk_mul_f16 v23, 0x3b9c, v17 op_sel_hi:[0,1]
	v_pk_add_f16 v25, v7, v8
	v_add_co_ci_u32_e64 v20, null, 0, 0, s2
	v_add_co_u32 v56, s2, 0xfa, v83
	v_add_co_ci_u32_e64 v20, null, 0, 0, s2
	v_pk_add_f16 v20, v12, v7
	v_pk_fma_f16 v33, 0x34f2, v27, v26 op_sel_hi:[0,1,1]
	v_pk_mul_f16 v24, 0x38b4, v19 op_sel_hi:[0,1]
	v_pk_add_f16 v27, v16, v23 op_sel:[0,1] op_sel_hi:[1,0]
	v_pk_add_f16 v16, v16, v23 op_sel:[0,1] op_sel_hi:[1,0] neg_lo:[0,1] neg_hi:[0,1]
	v_pk_fma_f16 v12, v25, 0.5, v12 op_sel_hi:[1,0,1] neg_lo:[1,0,0] neg_hi:[1,0,0]
	v_pk_mul_f16 v19, 0x3b9c, v19 op_sel_hi:[0,1]
	v_pk_add_f16 v18, v20, v10
	v_pk_add_f16 v26, v7, v10 neg_lo:[0,1] neg_hi:[0,1]
	v_pk_add_f16 v23, v8, v3 neg_lo:[0,1] neg_hi:[0,1]
	v_pk_add_f16 v25, v27, v24 op_sel:[0,1] op_sel_hi:[1,0]
	v_pk_add_f16 v16, v16, v24 op_sel:[0,1] op_sel_hi:[1,0] neg_lo:[0,1] neg_hi:[0,1]
	v_pk_mul_f16 v17, 0x38b4, v17 op_sel_hi:[0,1]
	v_pk_add_f16 v24, v12, v19 op_sel:[0,1] op_sel_hi:[1,0] neg_lo:[0,1] neg_hi:[0,1]
	v_pk_add_f16 v12, v12, v19 op_sel:[0,1] op_sel_hi:[1,0]
	v_mul_lo_u16 v15, v83, 5
	v_mov_b32_e32 v20, 2
	v_pk_add_f16 v18, v18, v3
	v_pk_add_f16 v23, v26, v23
	v_bfi_b32 v19, 0xffff, v25, v16
	v_pk_add_f16 v7, v10, v7 neg_lo:[0,1] neg_hi:[0,1]
	v_pk_add_f16 v3, v3, v8 neg_lo:[0,1] neg_hi:[0,1]
	v_pk_add_f16 v10, v24, v17 op_sel:[0,1] op_sel_hi:[1,0]
	v_pk_add_f16 v12, v12, v17 op_sel:[0,1] op_sel_hi:[1,0] neg_lo:[0,1] neg_hi:[0,1]
	v_lshlrev_b32_sdwa v88, v20, v15 dst_sel:DWORD dst_unused:UNUSED_PAD src0_sel:DWORD src1_sel:WORD_0
	v_pk_add_f16 v8, v18, v8
	v_pk_fma_f16 v15, 0x34f2, v23, v19 op_sel_hi:[0,1,1]
	v_pk_add_f16 v3, v7, v3
	v_bfi_b32 v7, 0xffff, v10, v12
	v_bfi_b32 v10, 0xffff, v12, v10
	s_barrier
	buffer_gl0_inv
	ds_write2_b32 v88, v8, v15 offset1:1
	v_pk_fma_f16 v7, 0x34f2, v3, v7 op_sel_hi:[0,1,1]
	v_mul_u32_u24_e32 v12, 5, v30
	v_pk_fma_f16 v3, 0x34f2, v3, v10 op_sel_hi:[0,1,1]
	v_pk_add_f16 v10, v11, v0
	v_pk_add_f16 v15, v4, v9 neg_lo:[0,1] neg_hi:[0,1]
	v_pk_add_f16 v21, v13, v4
	v_bfi_b32 v8, 0xffff, v16, v25
	v_lshlrev_b32_e32 v87, 2, v12
	v_pk_add_f16 v12, v11, v0 neg_lo:[0,1] neg_hi:[0,1]
	v_pk_fma_f16 v10, v10, 0.5, v13 op_sel_hi:[1,0,1] neg_lo:[1,0,0] neg_hi:[1,0,0]
	v_pk_mul_f16 v16, 0x3b9c, v15 op_sel_hi:[0,1]
	v_pk_add_f16 v17, v4, v9
	v_pk_add_f16 v18, v21, v11
	v_pk_mul_f16 v19, 0x38b4, v12 op_sel_hi:[0,1]
	v_pk_mul_f16 v12, 0x3b9c, v12 op_sel_hi:[0,1]
	v_pk_add_f16 v21, v10, v16 op_sel:[0,1] op_sel_hi:[1,0]
	v_pk_fma_f16 v13, v17, 0.5, v13 op_sel_hi:[1,0,1] neg_lo:[1,0,0] neg_hi:[1,0,0]
	v_pk_add_f16 v10, v10, v16 op_sel:[0,1] op_sel_hi:[1,0] neg_lo:[0,1] neg_hi:[0,1]
	v_pk_mul_f16 v15, 0x38b4, v15 op_sel_hi:[0,1]
	v_pk_add_f16 v20, v4, v11 neg_lo:[0,1] neg_hi:[0,1]
	v_pk_add_f16 v16, v21, v19 op_sel:[0,1] op_sel_hi:[1,0]
	v_pk_add_f16 v21, v13, v12 op_sel:[0,1] op_sel_hi:[1,0] neg_lo:[0,1] neg_hi:[0,1]
	v_pk_add_f16 v12, v13, v12 op_sel:[0,1] op_sel_hi:[1,0]
	v_pk_add_f16 v4, v11, v4 neg_lo:[0,1] neg_hi:[0,1]
	v_pk_add_f16 v11, v0, v9 neg_lo:[0,1] neg_hi:[0,1]
	v_pk_add_f16 v17, v9, v0 neg_lo:[0,1] neg_hi:[0,1]
	v_pk_add_f16 v13, v21, v15 op_sel:[0,1] op_sel_hi:[1,0]
	v_pk_add_f16 v12, v12, v15 op_sel:[0,1] op_sel_hi:[1,0] neg_lo:[0,1] neg_hi:[0,1]
	v_pk_add_f16 v10, v10, v19 op_sel:[0,1] op_sel_hi:[1,0] neg_lo:[0,1] neg_hi:[0,1]
	v_pk_add_f16 v4, v4, v11
	v_pk_add_f16 v0, v18, v0
	;; [unrolled: 1-line block ×3, first 2 shown]
	v_bfi_b32 v11, 0xffff, v13, v12
	v_bfi_b32 v12, 0xffff, v12, v13
	;; [unrolled: 1-line block ×3, first 2 shown]
	v_pk_fma_f16 v8, 0x34f2, v23, v8 op_sel_hi:[0,1,1]
	ds_write2_b32 v88, v7, v3 offset0:2 offset1:3
	v_pk_fma_f16 v3, 0x34f2, v4, v11 op_sel_hi:[0,1,1]
	v_pk_fma_f16 v4, 0x34f2, v4, v12 op_sel_hi:[0,1,1]
	v_pk_add_f16 v0, v0, v9
	v_pk_fma_f16 v9, 0x34f2, v15, v17 op_sel_hi:[0,1,1]
	ds_write_b32 v88, v8 offset:16
	ds_write2_b32 v87, v0, v9 offset1:1
	v_mul_u32_u24_e32 v7, 5, v56
	ds_write2_b32 v87, v3, v4 offset0:2 offset1:3
	v_pk_add_f16 v3, v2, v1
	v_pk_add_f16 v4, v5, v14 neg_lo:[0,1] neg_hi:[0,1]
	v_pk_add_f16 v9, v5, v14
	v_lshlrev_b32_e32 v89, 2, v7
	v_pk_add_f16 v7, v2, v1 neg_lo:[0,1] neg_hi:[0,1]
	v_pk_fma_f16 v3, v3, 0.5, v6 op_sel_hi:[1,0,1] neg_lo:[1,0,0] neg_hi:[1,0,0]
	v_pk_mul_f16 v8, 0x3b9c, v4 op_sel_hi:[0,1]
	v_pk_add_f16 v22, v6, v5
	v_pk_fma_f16 v6, v9, 0.5, v6 op_sel_hi:[1,0,1] neg_lo:[1,0,0] neg_hi:[1,0,0]
	v_pk_mul_f16 v11, 0x38b4, v7 op_sel_hi:[0,1]
	v_pk_mul_f16 v7, 0x3b9c, v7 op_sel_hi:[0,1]
	v_pk_add_f16 v13, v3, v8 op_sel:[0,1] op_sel_hi:[1,0]
	s_load_dwordx2 s[0:1], s[4:5], 0x8
	v_pk_add_f16 v3, v3, v8 op_sel:[0,1] op_sel_hi:[1,0] neg_lo:[0,1] neg_hi:[0,1]
	v_pk_mul_f16 v4, 0x38b4, v4 op_sel_hi:[0,1]
	v_bfi_b32 v0, 0xffff, v10, v16
	v_pk_add_f16 v8, v13, v11 op_sel:[0,1] op_sel_hi:[1,0]
	v_pk_add_f16 v13, v6, v7 op_sel:[0,1] op_sel_hi:[1,0] neg_lo:[0,1] neg_hi:[0,1]
	v_pk_add_f16 v6, v6, v7 op_sel:[0,1] op_sel_hi:[1,0]
	v_pk_add_f16 v10, v22, v2
	v_pk_add_f16 v12, v5, v2 neg_lo:[0,1] neg_hi:[0,1]
	v_pk_add_f16 v9, v14, v1 neg_lo:[0,1] neg_hi:[0,1]
	v_pk_add_f16 v3, v3, v11 op_sel:[0,1] op_sel_hi:[1,0] neg_lo:[0,1] neg_hi:[0,1]
	v_pk_add_f16 v2, v2, v5 neg_lo:[0,1] neg_hi:[0,1]
	v_pk_add_f16 v5, v1, v14 neg_lo:[0,1] neg_hi:[0,1]
	v_pk_add_f16 v7, v13, v4 op_sel:[0,1] op_sel_hi:[1,0]
	v_pk_add_f16 v4, v6, v4 op_sel:[0,1] op_sel_hi:[1,0] neg_lo:[0,1] neg_hi:[0,1]
	v_add_co_u32 v46, null, 0x177, v83
	v_pk_add_f16 v1, v10, v1
	v_pk_add_f16 v6, v12, v9
	v_bfi_b32 v9, 0xffff, v8, v3
	v_pk_add_f16 v2, v2, v5
	v_bfi_b32 v5, 0xffff, v7, v4
	v_bfi_b32 v4, 0xffff, v4, v7
	;; [unrolled: 1-line block ×3, first 2 shown]
	v_lshrrev_b32_e32 v35, 16, v33
	v_pk_fma_f16 v0, 0x34f2, v15, v0 op_sel_hi:[0,1,1]
	v_mul_u32_u24_e32 v90, 5, v46
	v_pk_add_f16 v1, v1, v14
	v_pk_fma_f16 v7, 0x34f2, v6, v9 op_sel_hi:[0,1,1]
	v_pk_fma_f16 v5, 0x34f2, v2, v5 op_sel_hi:[0,1,1]
	;; [unrolled: 1-line block ×4, first 2 shown]
	ds_write_b32 v87, v0 offset:16
	ds_write2_b32 v89, v1, v7 offset1:1
	ds_write2_b32 v89, v5, v2 offset0:2 offset1:3
	ds_write_b32 v89, v3 offset:16
	s_and_saveexec_b32 s2, vcc_lo
	s_cbranch_execz .LBB0_7
; %bb.6:
	v_lshlrev_b32_e32 v0, 2, v90
	v_bfi_b32 v1, 0xffff, v33, v36
	v_perm_b32 v2, v35, v36, 0x5040100
	ds_write2_b32 v0, v31, v32 offset1:1
	ds_write2_b32 v0, v1, v2 offset0:2 offset1:3
	ds_write_b32 v0, v34 offset:16
.LBB0_7:
	s_or_b32 exec_lo, exec_lo, s2
	v_add_nc_u32_e32 v0, 0x300, v70
	s_waitcnt lgkmcnt(0)
	s_barrier
	buffer_gl0_inv
	ds_read2_b32 v[18:19], v70 offset1:125
	ds_read2_b32 v[16:17], v0 offset0:58 offset1:208
	v_add_nc_u32_e32 v0, 0xc00, v70
	v_add_nc_u32_e32 v1, 0x1000, v70
	;; [unrolled: 1-line block ×5, first 2 shown]
	ds_read2_b32 v[26:27], v0 offset0:32 offset1:157
	ds_read2_b32 v[20:21], v1 offset0:26 offset1:176
	;; [unrolled: 1-line block ×5, first 2 shown]
	ds_read_b32 v38, v70 offset:7400
	v_lshrrev_b32_e32 v39, 16, v32
	s_and_saveexec_b32 s2, vcc_lo
	s_cbranch_execz .LBB0_9
; %bb.8:
	ds_read_b32 v32, v70 offset:3100
	ds_read_b32 v0, v70 offset:6300
	;; [unrolled: 1-line block ×5, first 2 shown]
	s_waitcnt lgkmcnt(4)
	v_lshrrev_b32_e32 v39, 16, v32
	s_waitcnt lgkmcnt(3)
	v_lshrrev_b32_e32 v35, 16, v0
	s_waitcnt lgkmcnt(2)
	v_bfi_b32 v36, 0xffff, v0, v33
.LBB0_9:
	s_or_b32 exec_lo, exec_lo, s2
	v_and_b32_e32 v58, 0xff, v83
	v_and_b32_e32 v59, 0xff, v30
	v_mov_b32_e32 v2, 0xcccd
	v_mov_b32_e32 v37, 2
	;; [unrolled: 1-line block ×3, first 2 shown]
	v_mul_lo_u16 v0, 0xcd, v58
	v_mul_lo_u16 v1, 0xcd, v59
	s_waitcnt lgkmcnt(5)
	v_lshrrev_b32_e32 v62, 16, v26
	s_waitcnt lgkmcnt(3)
	v_lshrrev_b32_e32 v63, 16, v28
	;; [unrolled: 2-line block ×3, first 2 shown]
	v_lshrrev_b16 v41, 10, v0
	v_lshrrev_b16 v42, 10, v1
	v_mul_u32_u24_sdwa v0, v56, v2 dst_sel:DWORD dst_unused:UNUSED_PAD src0_sel:WORD_0 src1_sel:DWORD
	v_lshrrev_b32_e32 v68, 16, v21
	v_lshrrev_b32_e32 v100, 16, v36
	v_mul_lo_u16 v1, v41, 5
	v_mul_lo_u16 v3, v42, 5
	v_lshrrev_b32_e32 v43, 18, v0
	s_waitcnt lgkmcnt(0)
	v_lshrrev_b32_e32 v101, 16, v34
	v_lshrrev_b32_e32 v102, 16, v17
	v_sub_nc_u16 v0, v83, v1
	v_sub_nc_u16 v1, v30, v3
	v_mul_lo_u16 v3, v43, 5
	v_mul_u32_u24_sdwa v41, v41, v61 dst_sel:DWORD dst_unused:UNUSED_PAD src0_sel:WORD_0 src1_sel:DWORD
	v_mul_u32_u24_sdwa v42, v42, v61 dst_sel:DWORD dst_unused:UNUSED_PAD src0_sel:WORD_0 src1_sel:DWORD
	v_and_b32_e32 v40, 0xff, v0
	v_mul_u32_u24_sdwa v0, v46, v2 dst_sel:DWORD dst_unused:UNUSED_PAD src0_sel:WORD_0 src1_sel:DWORD
	v_and_b32_e32 v44, 0xff, v1
	v_sub_nc_u16 v57, v56, v3
	v_lshrrev_b32_e32 v65, 16, v27
	v_lshlrev_b32_e32 v1, 4, v40
	v_lshrrev_b32_e32 v45, 18, v0
	v_lshlrev_b32_e32 v0, 4, v44
	v_lshlrev_b16 v2, 2, v57
	v_mad_u16 v43, v43, 25, v57
	global_load_dwordx4 v[12:15], v1, s[0:1]
	v_lshrrev_b32_e32 v66, 16, v29
	global_load_dwordx4 v[8:11], v0, s[0:1]
	v_mul_lo_u16 v1, v45, 5
	v_lshlrev_b32_sdwa v0, v37, v2 dst_sel:DWORD dst_unused:UNUSED_PAD src0_sel:DWORD src1_sel:WORD_0
	v_lshrrev_b32_e32 v67, 16, v25
	v_lshrrev_b32_e32 v97, 16, v22
	v_lshrrev_b32_e32 v96, 16, v20
	v_sub_nc_u16 v60, v46, v1
	global_load_dwordx4 v[4:7], v0, s[0:1]
	v_lshrrev_b32_e32 v98, 16, v23
	v_lshrrev_b32_e32 v99, 16, v38
	v_add_lshl_u32 v94, v41, v40, 2
	v_lshlrev_b16 v0, 2, v60
	v_add_lshl_u32 v93, v42, v44, 2
	v_lshlrev_b32_sdwa v95, v37, v43 dst_sel:DWORD dst_unused:UNUSED_PAD src0_sel:DWORD src1_sel:WORD_0
	v_mad_u16 v92, v45, 25, v60
	v_lshrrev_b32_e32 v69, 16, v18
	v_lshlrev_b32_sdwa v0, v37, v0 dst_sel:DWORD dst_unused:UNUSED_PAD src0_sel:DWORD src1_sel:WORD_0
	v_lshrrev_b32_e32 v103, 16, v16
	v_lshrrev_b32_e32 v91, 16, v19
	;; [unrolled: 1-line block ×3, first 2 shown]
	global_load_dwordx4 v[0:3], v0, s[0:1]
	s_waitcnt vmcnt(0)
	s_barrier
	buffer_gl0_inv
	v_mul_f16_sdwa v40, v62, v13 dst_sel:DWORD dst_unused:UNUSED_PAD src0_sel:DWORD src1_sel:WORD_1
	v_mul_f16_sdwa v41, v26, v13 dst_sel:DWORD dst_unused:UNUSED_PAD src0_sel:DWORD src1_sel:WORD_1
	;; [unrolled: 1-line block ×32, first 2 shown]
	v_fma_f16 v26, v26, v13, -v40
	v_fma_f16 v28, v28, v15, -v43
	;; [unrolled: 1-line block ×4, first 2 shown]
	v_fmac_f16_e32 v41, v62, v13
	v_fmac_f16_e32 v110, v68, v14
	;; [unrolled: 1-line block ×3, first 2 shown]
	v_fma_f16 v32, v32, v0, -v118
	v_fma_f16 v33, v33, v1, -v120
	;; [unrolled: 1-line block ×5, first 2 shown]
	v_fmac_f16_e32 v126, v102, v12
	v_fma_f16 v27, v27, v9, -v42
	v_fma_f16 v29, v29, v11, -v45
	;; [unrolled: 1-line block ×4, first 2 shown]
	v_fmac_f16_e32 v60, v65, v9
	v_fmac_f16_e32 v114, v97, v10
	;; [unrolled: 1-line block ×5, first 2 shown]
	v_fma_f16 v20, v20, v5, -v109
	v_fma_f16 v23, v23, v6, -v113
	v_fmac_f16_e32 v111, v96, v5
	v_fmac_f16_e32 v115, v98, v6
	v_fma_f16 v38, v38, v7, -v116
	v_fmac_f16_e32 v117, v99, v7
	v_fmac_f16_e32 v119, v39, v0
	;; [unrolled: 1-line block ×5, first 2 shown]
	v_sub_f16_e32 v35, v17, v26
	v_sub_f16_e32 v39, v28, v21
	;; [unrolled: 1-line block ×6, first 2 shown]
	v_add_f16_e32 v61, v41, v110
	v_add_f16_e32 v63, v69, v126
	v_sub_f16_e32 v64, v41, v126
	v_sub_f16_e32 v65, v110, v44
	v_add_f16_e32 v97, v19, v24
	v_add_f16_e32 v147, v26, v21
	;; [unrolled: 1-line block ×10, first 2 shown]
	v_sub_f16_e32 v98, v27, v24
	v_sub_f16_e32 v99, v22, v29
	v_add_f16_e32 v102, v60, v114
	v_add_f16_e32 v122, v16, v25
	v_add_f16_e32 v132, v103, v107
	v_add_f16_e32 v105, v106, v104
	v_add_f16_e32 v108, v91, v106
	v_sub_f16_e32 v66, v24, v27
	v_sub_f16_e32 v100, v106, v60
	;; [unrolled: 1-line block ×5, first 2 shown]
	v_add_f16_e32 v118, v20, v23
	v_add_f16_e32 v120, v25, v38
	;; [unrolled: 1-line block ×7, first 2 shown]
	v_sub_f16_e32 v149, v41, v110
	v_sub_f16_e32 v150, v27, v22
	;; [unrolled: 1-line block ×4, first 2 shown]
	v_add_f16_e32 v35, v35, v39
	v_add_f16_e32 v39, v40, v42
	;; [unrolled: 1-line block ×3, first 2 shown]
	v_fma_f16 v42, -0.5, v61, v69
	v_add_f16_e32 v43, v64, v65
	v_add_f16_e32 v41, v63, v41
	;; [unrolled: 1-line block ×3, first 2 shown]
	v_fma_f16 v64, -0.5, v154, v31
	v_fma_f16 v63, -0.5, v155, v31
	v_add_f16_e32 v31, v156, v33
	v_fma_f16 v97, -0.5, v147, v18
	v_sub_f16_e32 v148, v26, v21
	v_fmac_f16_e32 v69, -0.5, v62
	v_add_f16_e32 v26, v146, v26
	v_fma_f16 v18, -0.5, v159, v18
	v_sub_f16_e32 v113, v25, v20
	v_sub_f16_e32 v124, v20, v25
	;; [unrolled: 1-line block ×5, first 2 shown]
	v_fma_f16 v160, -0.5, v68, v19
	v_fmac_f16_e32 v19, -0.5, v96
	v_add_f16_e32 v96, v98, v99
	v_fma_f16 v99, -0.5, v102, v91
	v_add_f16_e32 v20, v122, v20
	v_add_f16_e32 v61, v132, v111
	v_sub_f16_e32 v151, v60, v114
	v_fmac_f16_e32 v91, -0.5, v105
	v_add_f16_e32 v60, v108, v60
	v_sub_f16_e32 v67, v29, v22
	v_sub_f16_e32 v127, v23, v38
	;; [unrolled: 1-line block ×18, first 2 shown]
	v_add_f16_e32 v98, v100, v101
	v_add_f16_e32 v100, v109, v112
	v_fma_f16 v102, -0.5, v118, v16
	v_fmac_f16_e32 v16, -0.5, v120
	v_fma_f16 v112, -0.5, v130, v103
	v_fmac_f16_e32 v103, -0.5, v131
	;; [unrolled: 2-line block ×3, first 2 shown]
	v_add_f16_e32 v33, v143, v121
	v_add_f16_e32 v31, v31, v36
	v_fmamk_f16 v36, v126, 0x3b9c, v97
	v_fmamk_f16 v108, v17, 0xbb9c, v42
	v_add_f16_e32 v21, v26, v21
	v_add_f16_e32 v26, v41, v110
	v_fmamk_f16 v41, v149, 0xbb9c, v18
	v_fmac_f16_e32 v18, 0x3b9c, v149
	v_fmamk_f16 v110, v148, 0x3b9c, v69
	v_fmac_f16_e32 v69, 0xbb9c, v148
	v_fmac_f16_e32 v97, 0xbb9c, v126
	;; [unrolled: 1-line block ×3, first 2 shown]
	v_sub_f16_e32 v116, v38, v23
	v_sub_f16_e32 v134, v115, v117
	v_add_f16_e32 v20, v20, v23
	v_add_f16_e32 v23, v61, v115
	v_fmamk_f16 v111, v106, 0x3b9c, v160
	v_fmamk_f16 v115, v24, 0xbb9c, v99
	v_add_f16_e32 v22, v27, v22
	v_add_f16_e32 v27, v60, v114
	v_fmamk_f16 v114, v151, 0xbb9c, v19
	v_fmac_f16_e32 v19, 0x3b9c, v151
	v_fmamk_f16 v121, v150, 0x3b9c, v91
	v_fmac_f16_e32 v91, 0xbb9c, v150
	v_sub_f16_e32 v140, v125, v123
	v_sub_f16_e32 v145, v123, v125
	v_add_f16_e32 v45, v66, v67
	v_add_f16_e32 v105, v124, v127
	;; [unrolled: 1-line block ×4, first 2 shown]
	v_fmac_f16_e32 v160, 0xbb9c, v106
	v_fmac_f16_e32 v99, 0x3b9c, v24
	v_fmamk_f16 v122, v107, 0x3b9c, v102
	v_fmac_f16_e32 v102, 0xbb9c, v107
	v_fmamk_f16 v123, v153, 0xbb9c, v16
	;; [unrolled: 2-line block ×8, first 2 shown]
	v_fmac_f16_e32 v57, 0xbb9c, v157
	v_fmac_f16_e32 v36, 0x38b4, v149
	;; [unrolled: 1-line block ×15, first 2 shown]
	v_add_f16_e32 v101, v113, v116
	v_add_f16_e32 v113, v133, v134
	;; [unrolled: 1-line block ×9, first 2 shown]
	v_fmac_f16_e32 v160, 0xb8b4, v151
	v_add_f16_e32 v22, v27, v104
	v_fmac_f16_e32 v99, 0x38b4, v150
	v_fmac_f16_e32 v122, 0x38b4, v153
	;; [unrolled: 1-line block ×19, first 2 shown]
	v_add_f16_e32 v20, v20, v38
	v_add_f16_e32 v23, v23, v117
	v_fmac_f16_e32 v41, 0x34f2, v39
	v_fmac_f16_e32 v18, 0x34f2, v39
	;; [unrolled: 1-line block ×12, first 2 shown]
	v_add_f16_e32 v60, v31, v34
	v_add_f16_e32 v61, v33, v125
	v_fmac_f16_e32 v160, 0x34f2, v45
	v_fmac_f16_e32 v99, 0x34f2, v98
	;; [unrolled: 1-line block ×18, first 2 shown]
	v_pack_b32_f16 v21, v21, v26
	v_pack_b32_f16 v17, v17, v22
	;; [unrolled: 1-line block ×15, first 2 shown]
	ds_write2_b32 v94, v21, v22 offset1:5
	ds_write2_b32 v94, v23, v18 offset0:10 offset1:15
	ds_write_b32 v94, v24 offset:80
	ds_write2_b32 v93, v17, v25 offset1:5
	ds_write2_b32 v93, v26, v19 offset0:10 offset1:15
	ds_write_b32 v93, v27 offset:80
	;; [unrolled: 3-line block ×3, first 2 shown]
	s_and_saveexec_b32 s2, vcc_lo
	s_cbranch_execz .LBB0_11
; %bb.10:
	v_lshlrev_b32_sdwa v16, v37, v92 dst_sel:DWORD dst_unused:UNUSED_PAD src0_sel:DWORD src1_sel:WORD_0
	v_perm_b32 v17, v61, v60, 0x5040100
	v_perm_b32 v18, v67, v65, 0x5040100
	;; [unrolled: 1-line block ×5, first 2 shown]
	ds_write2_b32 v16, v17, v18 offset1:5
	ds_write2_b32 v16, v19, v20 offset0:10 offset1:15
	ds_write_b32 v16, v21 offset:80
.LBB0_11:
	s_or_b32 exec_lo, exec_lo, s2
	v_add_nc_u32_e32 v16, 0x300, v70
	s_waitcnt lgkmcnt(0)
	s_barrier
	buffer_gl0_inv
	ds_read2_b32 v[34:35], v70 offset1:125
	ds_read2_b32 v[32:33], v16 offset0:58 offset1:208
	v_add_nc_u32_e32 v16, 0xc00, v70
	v_add_nc_u32_e32 v17, 0x1000, v70
	;; [unrolled: 1-line block ×5, first 2 shown]
	ds_read2_b32 v[44:45], v16 offset0:32 offset1:157
	ds_read2_b32 v[36:37], v17 offset0:26 offset1:176
	;; [unrolled: 1-line block ×5, first 2 shown]
	ds_read_b32 v69, v70 offset:7400
	s_and_saveexec_b32 s2, vcc_lo
	s_cbranch_execz .LBB0_13
; %bb.12:
	ds_read_b32 v60, v70 offset:1500
	ds_read_b32 v65, v70 offset:3100
	;; [unrolled: 1-line block ×5, first 2 shown]
	s_waitcnt lgkmcnt(4)
	v_lshrrev_b32_e32 v61, 16, v60
	s_waitcnt lgkmcnt(3)
	v_lshrrev_b32_e32 v67, 16, v65
	;; [unrolled: 2-line block ×5, first 2 shown]
.LBB0_13:
	s_or_b32 exec_lo, exec_lo, s2
	v_mul_lo_u16 v16, v58, 41
	v_mov_b32_e32 v109, 0x7d
	s_waitcnt lgkmcnt(6)
	v_lshrrev_b32_e32 v101, 16, v33
	s_waitcnt lgkmcnt(5)
	v_lshrrev_b32_e32 v102, 16, v44
	;; [unrolled: 2-line block ×3, first 2 shown]
	v_lshrrev_b16 v96, 10, v16
	v_mul_lo_u16 v16, v59, 41
	s_waitcnt lgkmcnt(3)
	v_lshrrev_b32_e32 v104, 16, v42
	v_mov_b32_e32 v58, 2
	s_waitcnt lgkmcnt(2)
	v_lshrrev_b32_e32 v105, 16, v40
	v_mul_lo_u16 v17, v96, 25
	v_lshrrev_b16 v59, 10, v16
	v_mul_u32_u24_sdwa v96, v96, v109 dst_sel:DWORD dst_unused:UNUSED_PAD src0_sel:WORD_0 src1_sel:DWORD
	v_lshrrev_b32_e32 v106, 16, v45
	s_waitcnt lgkmcnt(1)
	v_lshrrev_b32_e32 v107, 16, v38
	v_sub_nc_u16 v16, v83, v17
	v_mul_lo_u16 v17, v59, 25
	v_mul_u32_u24_sdwa v59, v59, v109 dst_sel:DWORD dst_unused:UNUSED_PAD src0_sel:WORD_0 src1_sel:DWORD
	v_lshrrev_b32_e32 v108, 16, v43
	v_lshrrev_b32_e32 v112, 16, v36
	v_and_b32_e32 v97, 0xff, v16
	v_sub_nc_u16 v16, v30, v17
	v_lshrrev_b32_e32 v109, 16, v39
	v_lshrrev_b32_e32 v111, 16, v41
	s_waitcnt lgkmcnt(0)
	v_lshrrev_b32_e32 v113, 16, v69
	v_lshlrev_b32_e32 v17, 4, v97
	v_and_b32_e32 v99, 0xff, v16
	v_lshrrev_b32_e32 v110, 16, v32
	global_load_dwordx4 v[28:31], v17, s[0:1] offset:80
	v_lshlrev_b32_e32 v16, 4, v99
	global_load_dwordx4 v[20:23], v16, s[0:1] offset:80
	v_mov_b32_e32 v16, 0x47af
	v_mul_u32_u24_sdwa v17, v56, v16 dst_sel:DWORD dst_unused:UNUSED_PAD src0_sel:WORD_0 src1_sel:DWORD
	v_mul_u32_u24_sdwa v16, v46, v16 dst_sel:DWORD dst_unused:UNUSED_PAD src0_sel:WORD_0 src1_sel:DWORD
	v_lshrrev_b32_e32 v17, 16, v17
	v_lshrrev_b32_e32 v16, 16, v16
	v_sub_nc_u16 v18, v56, v17
	v_sub_nc_u16 v19, v46, v16
	v_lshrrev_b16 v18, 1, v18
	v_add_nc_u16 v17, v18, v17
	v_lshrrev_b16 v18, 1, v19
	v_lshrrev_b16 v98, 4, v17
	v_add_nc_u16 v16, v18, v16
	v_mul_lo_u16 v17, v98, 25
	v_lshrrev_b16 v16, 4, v16
	v_sub_nc_u16 v100, v56, v17
	v_mul_lo_u16 v16, v16, 25
	v_lshrrev_b32_e32 v56, 16, v35
	v_lshlrev_b16 v17, 4, v100
	v_sub_nc_u16 v91, v46, v16
	v_mad_u16 v100, 0x7d, v98, v100
	v_add_lshl_u32 v98, v96, v97, 2
	v_add_lshl_u32 v97, v59, v99, 2
	v_and_b32_e32 v16, 0xffff, v17
	v_lshlrev_b16 v18, 4, v91
	v_lshlrev_b32_sdwa v96, v58, v100 dst_sel:DWORD dst_unused:UNUSED_PAD src0_sel:DWORD src1_sel:WORD_0
	v_lshrrev_b32_e32 v46, 16, v34
	v_add_co_u32 v16, s2, s0, v16
	v_add_co_ci_u32_e64 v17, null, s1, 0, s2
	v_and_b32_e32 v18, 0xffff, v18
	global_load_dwordx4 v[24:27], v[16:17], off offset:80
	v_add_co_u32 v16, s2, s0, v18
	v_add_co_ci_u32_e64 v17, null, s1, 0, s2
	global_load_dwordx4 v[16:19], v[16:17], off offset:80
	s_waitcnt vmcnt(0)
	s_barrier
	buffer_gl0_inv
	v_mul_f16_sdwa v59, v101, v28 dst_sel:DWORD dst_unused:UNUSED_PAD src0_sel:DWORD src1_sel:WORD_1
	v_mul_f16_sdwa v99, v33, v28 dst_sel:DWORD dst_unused:UNUSED_PAD src0_sel:DWORD src1_sel:WORD_1
	;; [unrolled: 1-line block ×16, first 2 shown]
	v_fma_f16 v33, v33, v28, -v59
	v_fmac_f16_e32 v99, v101, v28
	v_fma_f16 v44, v44, v29, -v100
	v_fmac_f16_e32 v114, v102, v29
	;; [unrolled: 2-line block ×4, first 2 shown]
	v_fmac_f16_e32 v118, v104, v31
	v_fma_f16 v40, v40, v20, -v119
	v_fma_f16 v45, v45, v21, -v121
	v_fmac_f16_e32 v122, v106, v21
	v_fma_f16 v38, v38, v22, -v123
	v_fmac_f16_e32 v124, v107, v22
	v_fma_f16 v43, v43, v23, -v125
	v_fmac_f16_e32 v126, v108, v23
	v_add_f16_e32 v59, v34, v33
	v_add_f16_e32 v100, v44, v37
	v_sub_f16_e32 v103, v33, v44
	v_sub_f16_e32 v104, v42, v37
	v_add_f16_e32 v105, v33, v42
	v_add_f16_e32 v108, v46, v99
	;; [unrolled: 1-line block ×4, first 2 shown]
	v_sub_f16_e32 v106, v44, v33
	v_sub_f16_e32 v107, v37, v42
	;; [unrolled: 1-line block ×4, first 2 shown]
	v_add_f16_e32 v123, v99, v118
	v_add_f16_e32 v127, v35, v40
	;; [unrolled: 1-line block ×6, first 2 shown]
	v_sub_f16_e32 v101, v99, v118
	v_sub_f16_e32 v102, v114, v116
	;; [unrolled: 1-line block ×4, first 2 shown]
	v_add_f16_e32 v44, v59, v44
	v_fma_f16 v59, -0.5, v100, v34
	v_add_f16_e32 v100, v103, v104
	v_fma_f16 v103, -0.5, v105, v34
	;; [unrolled: 2-line block ×3, first 2 shown]
	v_add_f16_e32 v115, v136, v122
	v_sub_f16_e32 v99, v114, v99
	v_sub_f16_e32 v125, v116, v118
	;; [unrolled: 1-line block ×7, first 2 shown]
	v_add_f16_e32 v104, v106, v107
	v_add_f16_e32 v106, v119, v121
	v_fmac_f16_e32 v46, -0.5, v123
	v_add_f16_e32 v45, v127, v45
	v_fma_f16 v107, -0.5, v128, v35
	v_fmac_f16_e32 v35, -0.5, v133
	v_fma_f16 v119, -0.5, v137, v56
	v_fmac_f16_e32 v56, -0.5, v141
	v_sub_f16_e32 v40, v40, v43
	v_sub_f16_e32 v139, v120, v122
	;; [unrolled: 1-line block ×3, first 2 shown]
	v_add_f16_e32 v37, v44, v37
	v_fmamk_f16 v44, v101, 0x3b9c, v59
	v_fmac_f16_e32 v59, 0xbb9c, v101
	v_fmamk_f16 v122, v102, 0xbb9c, v103
	v_fmac_f16_e32 v103, 0x3b9c, v102
	v_add_f16_e32 v34, v34, v116
	v_fmamk_f16 v116, v33, 0xbb9c, v105
	v_fmac_f16_e32 v105, 0x3b9c, v33
	v_add_f16_e32 v115, v115, v124
	v_sub_f16_e32 v132, v43, v38
	v_sub_f16_e32 v135, v38, v43
	v_add_f16_e32 v99, v99, v125
	v_fmamk_f16 v123, v117, 0x3b9c, v46
	v_fmac_f16_e32 v46, 0xbb9c, v117
	v_add_f16_e32 v38, v45, v38
	v_fmamk_f16 v45, v129, 0x3b9c, v107
	v_fmac_f16_e32 v107, 0xbb9c, v129
	v_fmamk_f16 v125, v130, 0xbb9c, v35
	v_fmac_f16_e32 v35, 0x3b9c, v130
	;; [unrolled: 2-line block ×3, first 2 shown]
	v_sub_f16_e32 v140, v126, v124
	v_sub_f16_e32 v142, v124, v126
	v_fmamk_f16 v124, v40, 0xbb9c, v119
	v_fmac_f16_e32 v44, 0x38b4, v102
	v_fmac_f16_e32 v59, 0xb8b4, v102
	;; [unrolled: 1-line block ×4, first 2 shown]
	v_add_f16_e32 v101, v34, v118
	v_fmac_f16_e32 v116, 0xb8b4, v117
	v_fmac_f16_e32 v105, 0x38b4, v117
	v_add_f16_e32 v102, v115, v126
	v_mul_f16_sdwa v117, v112, v25 dst_sel:DWORD dst_unused:UNUSED_PAD src0_sel:DWORD src1_sel:WORD_1
	v_mul_f16_sdwa v118, v36, v25 dst_sel:DWORD dst_unused:UNUSED_PAD src0_sel:DWORD src1_sel:WORD_1
	;; [unrolled: 1-line block ×4, first 2 shown]
	v_fmac_f16_e32 v119, 0x3b9c, v40
	v_fmac_f16_e32 v123, 0xb8b4, v33
	;; [unrolled: 1-line block ×9, first 2 shown]
	v_mul_f16_sdwa v40, v111, v24 dst_sel:DWORD dst_unused:UNUSED_PAD src0_sel:DWORD src1_sel:WORD_1
	v_mul_f16_sdwa v115, v41, v24 dst_sel:DWORD dst_unused:UNUSED_PAD src0_sel:DWORD src1_sel:WORD_1
	;; [unrolled: 1-line block ×4, first 2 shown]
	v_add_f16_e32 v108, v131, v132
	v_add_f16_e32 v121, v139, v140
	v_fmac_f16_e32 v124, 0xb8b4, v138
	v_add_f16_e32 v114, v134, v135
	v_add_f16_e32 v120, v120, v142
	;; [unrolled: 1-line block ×4, first 2 shown]
	v_mul_f16_sdwa v131, v67, v16 dst_sel:DWORD dst_unused:UNUSED_PAD src0_sel:DWORD src1_sel:WORD_1
	v_mul_f16_sdwa v38, v65, v16 dst_sel:DWORD dst_unused:UNUSED_PAD src0_sel:DWORD src1_sel:WORD_1
	;; [unrolled: 1-line block ×8, first 2 shown]
	v_fmac_f16_e32 v44, 0x34f2, v100
	v_fmac_f16_e32 v59, 0x34f2, v100
	;; [unrolled: 1-line block ×5, first 2 shown]
	v_fma_f16 v100, v36, v25, -v117
	v_fmac_f16_e32 v118, v112, v25
	v_fma_f16 v104, v39, v26, -v126
	v_fmac_f16_e32 v128, v109, v26
	v_fmac_f16_e32 v119, 0x38b4, v138
	;; [unrolled: 1-line block ×4, first 2 shown]
	v_fma_f16 v99, v41, v24, -v40
	v_fmac_f16_e32 v115, v111, v24
	v_fma_f16 v69, v69, v27, -v129
	v_fmac_f16_e32 v130, v113, v27
	v_fmac_f16_e32 v105, 0x34f2, v106
	;; [unrolled: 1-line block ×8, first 2 shown]
	v_fma_f16 v39, v65, v16, -v131
	v_fmac_f16_e32 v38, v67, v16
	v_fma_f16 v40, v66, v17, -v132
	v_fmac_f16_e32 v34, v68, v17
	;; [unrolled: 2-line block ×4, first 2 shown]
	v_pack_b32_f16 v42, v42, v101
	v_pack_b32_f16 v44, v44, v116
	v_add_f16_e32 v64, v100, v104
	v_add_f16_e32 v106, v118, v128
	v_fmac_f16_e32 v107, 0x34f2, v108
	v_fmac_f16_e32 v119, 0x34f2, v121
	v_pack_b32_f16 v57, v122, v123
	v_pack_b32_f16 v46, v103, v46
	v_add_f16_e32 v101, v99, v69
	v_add_f16_e32 v111, v115, v130
	v_pack_b32_f16 v59, v59, v105
	v_pack_b32_f16 v43, v43, v102
	v_pack_b32_f16 v45, v45, v124
	v_pack_b32_f16 v62, v125, v127
	v_pack_b32_f16 v35, v35, v56
	v_add_f16_e32 v63, v32, v99
	v_sub_f16_e32 v102, v100, v99
	v_sub_f16_e32 v103, v104, v69
	v_add_f16_e32 v114, v40, v41
	v_add_f16_e32 v120, v39, v36
	;; [unrolled: 1-line block ×4, first 2 shown]
	v_sub_f16_e32 v65, v115, v130
	v_sub_f16_e32 v67, v99, v100
	;; [unrolled: 1-line block ×3, first 2 shown]
	v_add_f16_e32 v105, v110, v115
	v_sub_f16_e32 v99, v99, v69
	ds_write2_b32 v98, v42, v44 offset1:25
	ds_write2_b32 v98, v57, v46 offset0:50 offset1:75
	ds_write_b32 v98, v59 offset:400
	ds_write2_b32 v97, v43, v45 offset1:25
	ds_write2_b32 v97, v62, v35 offset0:50 offset1:75
	v_fma_f16 v42, -0.5, v64, v32
	v_fma_f16 v46, -0.5, v106, v110
	v_pack_b32_f16 v56, v107, v119
	v_sub_f16_e32 v66, v118, v128
	v_sub_f16_e32 v108, v100, v104
	;; [unrolled: 1-line block ×6, first 2 shown]
	v_fmac_f16_e32 v32, -0.5, v101
	v_fmac_f16_e32 v110, -0.5, v111
	v_sub_f16_e32 v115, v38, v33
	v_sub_f16_e32 v116, v34, v37
	;; [unrolled: 1-line block ×4, first 2 shown]
	v_add_f16_e32 v35, v63, v100
	v_add_f16_e32 v44, v102, v103
	v_fma_f16 v103, -0.5, v114, v60
	v_fma_f16 v101, -0.5, v120, v60
	;; [unrolled: 1-line block ×4, first 2 shown]
	v_add_f16_e32 v43, v67, v68
	v_add_f16_e32 v45, v105, v118
	v_fmamk_f16 v68, v65, 0x3b9c, v42
	v_fmamk_f16 v111, v99, 0xbb9c, v46
	v_add_f16_e32 v57, v107, v109
	v_add_f16_e32 v59, v112, v113
	v_fmamk_f16 v109, v66, 0xbb9c, v32
	v_fmac_f16_e32 v32, 0x3b9c, v66
	v_fmamk_f16 v112, v108, 0x3b9c, v110
	v_fmac_f16_e32 v110, 0xbb9c, v108
	v_fmac_f16_e32 v42, 0xbb9c, v65
	;; [unrolled: 1-line block ×3, first 2 shown]
	v_sub_f16_e32 v117, v39, v40
	v_sub_f16_e32 v119, v36, v41
	;; [unrolled: 1-line block ×8, first 2 shown]
	v_add_f16_e32 v35, v35, v104
	v_fmamk_f16 v104, v115, 0x3b9c, v103
	v_fmac_f16_e32 v103, 0xbb9c, v115
	v_fmamk_f16 v105, v116, 0xbb9c, v101
	v_fmac_f16_e32 v101, 0x3b9c, v116
	;; [unrolled: 2-line block ×4, first 2 shown]
	v_add_f16_e32 v45, v45, v128
	v_fmac_f16_e32 v68, 0x38b4, v66
	v_fmac_f16_e32 v111, 0xb8b4, v108
	;; [unrolled: 1-line block ×8, first 2 shown]
	v_add_f16_e32 v62, v117, v119
	v_add_f16_e32 v63, v121, v122
	;; [unrolled: 1-line block ×4, first 2 shown]
	v_fmac_f16_e32 v104, 0x38b4, v116
	v_fmac_f16_e32 v103, 0xb8b4, v116
	;; [unrolled: 1-line block ×8, first 2 shown]
	v_add_f16_e32 v35, v35, v69
	v_add_f16_e32 v45, v45, v130
	v_fmac_f16_e32 v68, 0x34f2, v43
	v_fmac_f16_e32 v111, 0x34f2, v57
	;; [unrolled: 1-line block ×16, first 2 shown]
	v_pack_b32_f16 v35, v35, v45
	v_pack_b32_f16 v43, v68, v111
	;; [unrolled: 1-line block ×5, first 2 shown]
	ds_write_b32 v97, v56 offset:400
	ds_write2_b32 v96, v35, v43 offset1:25
	ds_write2_b32 v96, v44, v32 offset0:50 offset1:75
	ds_write_b32 v96, v42 offset:400
	s_and_saveexec_b32 s2, vcc_lo
	s_cbranch_execz .LBB0_15
; %bb.14:
	v_add_f16_e32 v32, v61, v38
	v_add_f16_e32 v35, v60, v39
	;; [unrolled: 1-line block ×4, first 2 shown]
	v_lshlrev_b32_sdwa v35, v58, v91 dst_sel:DWORD dst_unused:UNUSED_PAD src0_sel:DWORD src1_sel:WORD_0
	v_add_f16_e32 v32, v32, v37
	v_add_f16_e32 v34, v34, v41
	v_perm_b32 v37, v102, v101, 0x5040100
	v_add_nc_u32_e32 v38, 0x1c00, v35
	v_add_f16_e32 v32, v32, v33
	v_add_f16_e32 v33, v34, v36
	v_perm_b32 v36, v107, v105, 0x5040100
	v_perm_b32 v34, v106, v104, 0x5040100
	v_pack_b32_f16 v32, v33, v32
	v_perm_b32 v33, v100, v103, 0x5040100
	ds_write2_b32 v38, v36, v37 offset0:133 offset1:158
	ds_write2_b32 v38, v32, v34 offset0:83 offset1:108
	ds_write_b32 v35, v33 offset:7900
.LBB0_15:
	s_or_b32 exec_lo, exec_lo, s2
	v_mad_u64_u32 v[44:45], null, v83, 60, s[0:1]
	s_waitcnt lgkmcnt(0)
	s_barrier
	buffer_gl0_inv
	v_add_nc_u32_e32 v99, 0x200, v70
	v_add_nc_u32_e32 v59, 0x600, v70
	;; [unrolled: 1-line block ×3, first 2 shown]
	s_clause 0x3
	global_load_dwordx4 v[40:43], v[44:45], off offset:480
	global_load_dwordx4 v[36:39], v[44:45], off offset:496
	;; [unrolled: 1-line block ×3, first 2 shown]
	global_load_dwordx3 v[44:46], v[44:45], off offset:528
	v_add_nc_u32_e32 v60, 0xe00, v70
	v_add_nc_u32_e32 v63, 0x1200, v70
	;; [unrolled: 1-line block ×4, first 2 shown]
	ds_read2_b32 v[56:57], v70 offset1:125
	ds_read2_b32 v[64:65], v99 offset0:122 offset1:247
	ds_read2_b32 v[66:67], v59 offset0:116 offset1:241
	;; [unrolled: 1-line block ×7, first 2 shown]
	s_waitcnt lgkmcnt(7)
	v_lshrrev_b32_e32 v117, 16, v57
	s_waitcnt lgkmcnt(6)
	v_lshrrev_b32_e32 v118, 16, v64
	v_lshrrev_b32_e32 v119, 16, v65
	s_waitcnt lgkmcnt(5)
	v_lshrrev_b32_e32 v120, 16, v66
	;; [unrolled: 3-line block ×7, first 2 shown]
	v_lshrrev_b32_e32 v131, 16, v115
	v_lshrrev_b32_e32 v116, 16, v56
	s_waitcnt vmcnt(3)
	v_mul_f16_sdwa v132, v117, v40 dst_sel:DWORD dst_unused:UNUSED_PAD src0_sel:DWORD src1_sel:WORD_1
	v_mul_f16_sdwa v133, v57, v40 dst_sel:DWORD dst_unused:UNUSED_PAD src0_sel:DWORD src1_sel:WORD_1
	v_mul_f16_sdwa v134, v118, v41 dst_sel:DWORD dst_unused:UNUSED_PAD src0_sel:DWORD src1_sel:WORD_1
	v_mul_f16_sdwa v135, v64, v41 dst_sel:DWORD dst_unused:UNUSED_PAD src0_sel:DWORD src1_sel:WORD_1
	v_mul_f16_sdwa v136, v119, v42 dst_sel:DWORD dst_unused:UNUSED_PAD src0_sel:DWORD src1_sel:WORD_1
	v_mul_f16_sdwa v137, v65, v42 dst_sel:DWORD dst_unused:UNUSED_PAD src0_sel:DWORD src1_sel:WORD_1
	v_mul_f16_sdwa v138, v120, v43 dst_sel:DWORD dst_unused:UNUSED_PAD src0_sel:DWORD src1_sel:WORD_1
	v_mul_f16_sdwa v139, v66, v43 dst_sel:DWORD dst_unused:UNUSED_PAD src0_sel:DWORD src1_sel:WORD_1
	s_waitcnt vmcnt(2)
	v_mul_f16_sdwa v140, v121, v36 dst_sel:DWORD dst_unused:UNUSED_PAD src0_sel:DWORD src1_sel:WORD_1
	v_mul_f16_sdwa v141, v67, v36 dst_sel:DWORD dst_unused:UNUSED_PAD src0_sel:DWORD src1_sel:WORD_1
	v_mul_f16_sdwa v142, v122, v37 dst_sel:DWORD dst_unused:UNUSED_PAD src0_sel:DWORD src1_sel:WORD_1
	v_mul_f16_sdwa v143, v68, v37 dst_sel:DWORD dst_unused:UNUSED_PAD src0_sel:DWORD src1_sel:WORD_1
	v_mul_f16_sdwa v144, v123, v38 dst_sel:DWORD dst_unused:UNUSED_PAD src0_sel:DWORD src1_sel:WORD_1
	v_mul_f16_sdwa v145, v69, v38 dst_sel:DWORD dst_unused:UNUSED_PAD src0_sel:DWORD src1_sel:WORD_1
	v_mul_f16_sdwa v146, v124, v39 dst_sel:DWORD dst_unused:UNUSED_PAD src0_sel:DWORD src1_sel:WORD_1
	v_mul_f16_sdwa v147, v108, v39 dst_sel:DWORD dst_unused:UNUSED_PAD src0_sel:DWORD src1_sel:WORD_1
	;; [unrolled: 9-line block ×3, first 2 shown]
	s_waitcnt vmcnt(0)
	v_mul_f16_sdwa v156, v129, v44 dst_sel:DWORD dst_unused:UNUSED_PAD src0_sel:DWORD src1_sel:WORD_1
	v_mul_f16_sdwa v157, v113, v44 dst_sel:DWORD dst_unused:UNUSED_PAD src0_sel:DWORD src1_sel:WORD_1
	;; [unrolled: 1-line block ×6, first 2 shown]
	v_fma_f16 v57, v57, v40, -v132
	v_fmac_f16_e32 v133, v117, v40
	v_fma_f16 v64, v64, v41, -v134
	v_fmac_f16_e32 v135, v118, v41
	;; [unrolled: 2-line block ×15, first 2 shown]
	v_sub_f16_e32 v108, v56, v108
	v_sub_f16_e32 v117, v116, v147
	;; [unrolled: 1-line block ×16, first 2 shown]
	v_fma_f16 v116, v116, 2.0, -v117
	v_fma_f16 v66, v66, 2.0, -v112
	v_fma_f16 v125, v139, 2.0, -v118
	v_fma_f16 v126, v135, 2.0, -v119
	v_fma_f16 v68, v68, 2.0, -v114
	v_fma_f16 v127, v143, 2.0, -v120
	v_fma_f16 v128, v133, 2.0, -v121
	v_fma_f16 v67, v67, 2.0, -v113
	v_fma_f16 v129, v141, 2.0, -v122
	v_fma_f16 v130, v137, 2.0, -v123
	v_fma_f16 v69, v69, 2.0, -v115
	v_fma_f16 v131, v145, 2.0, -v124
	v_sub_f16_e32 v118, v108, v118
	v_add_f16_e32 v112, v117, v112
	v_sub_f16_e32 v120, v110, v120
	v_add_f16_e32 v114, v119, v114
	;; [unrolled: 2-line block ×4, first 2 shown]
	v_fma_f16 v56, v56, 2.0, -v108
	v_fma_f16 v64, v64, 2.0, -v110
	;; [unrolled: 1-line block ×4, first 2 shown]
	v_sub_f16_e32 v125, v116, v125
	v_fma_f16 v132, v108, 2.0, -v118
	v_fma_f16 v117, v117, 2.0, -v112
	v_sub_f16_e32 v108, v126, v127
	v_fma_f16 v110, v110, 2.0, -v120
	v_fma_f16 v119, v119, 2.0, -v114
	;; [unrolled: 3-line block ×4, first 2 shown]
	v_fmamk_f16 v131, v120, 0x39a8, v118
	v_fmamk_f16 v133, v114, 0x39a8, v112
	v_sub_f16_e32 v66, v56, v66
	v_sub_f16_e32 v68, v64, v68
	;; [unrolled: 1-line block ×4, first 2 shown]
	v_fmamk_f16 v134, v124, 0x39a8, v122
	v_fmamk_f16 v135, v115, 0x39a8, v113
	v_fma_f16 v116, v116, 2.0, -v125
	v_fma_f16 v126, v126, 2.0, -v108
	;; [unrolled: 1-line block ×4, first 2 shown]
	v_fmamk_f16 v136, v110, 0xb9a8, v132
	v_fmamk_f16 v137, v119, 0xb9a8, v117
	v_fmac_f16_e32 v131, 0xb9a8, v114
	v_fmac_f16_e32 v133, 0x39a8, v120
	v_fmamk_f16 v114, v111, 0xb9a8, v129
	v_fmamk_f16 v120, v123, 0xb9a8, v121
	v_fma_f16 v56, v56, 2.0, -v66
	v_fma_f16 v64, v64, 2.0, -v68
	;; [unrolled: 1-line block ×4, first 2 shown]
	v_sub_f16_e32 v138, v66, v108
	v_add_f16_e32 v68, v125, v68
	v_sub_f16_e32 v139, v67, v109
	v_add_f16_e32 v69, v127, v69
	v_fmac_f16_e32 v134, 0xb9a8, v115
	v_fmac_f16_e32 v135, 0x39a8, v124
	v_sub_f16_e32 v115, v116, v126
	v_fmac_f16_e32 v136, 0xb9a8, v119
	v_fmac_f16_e32 v137, 0x39a8, v110
	v_sub_f16_e32 v119, v128, v130
	;; [unrolled: 3-line block ×3, first 2 shown]
	v_fma_f16 v66, v66, 2.0, -v138
	v_fma_f16 v110, v125, 2.0, -v68
	v_sub_f16_e32 v65, v57, v65
	v_fma_f16 v67, v67, 2.0, -v139
	v_fma_f16 v111, v127, 2.0, -v69
	v_fmamk_f16 v123, v139, 0x39a8, v138
	v_fmamk_f16 v124, v69, 0x39a8, v68
	;; [unrolled: 1-line block ×3, first 2 shown]
	v_fma_f16 v116, v116, 2.0, -v115
	v_fma_f16 v125, v132, 2.0, -v136
	;; [unrolled: 1-line block ×10, first 2 shown]
	v_fmamk_f16 v108, v134, 0x3b64, v131
	v_fma_f16 v56, v56, 2.0, -v64
	v_fma_f16 v57, v57, 2.0, -v65
	v_fmamk_f16 v128, v67, 0xb9a8, v66
	v_fmamk_f16 v129, v111, 0xb9a8, v110
	v_sub_f16_e32 v119, v64, v119
	v_add_f16_e32 v65, v115, v65
	v_fmac_f16_e32 v123, 0xb9a8, v69
	v_fmac_f16_e32 v124, 0x39a8, v139
	;; [unrolled: 1-line block ×3, first 2 shown]
	v_sub_f16_e32 v69, v116, v126
	v_fmamk_f16 v126, v127, 0xbb64, v125
	v_fmamk_f16 v134, v121, 0xbb64, v117
	;; [unrolled: 1-line block ×6, first 2 shown]
	v_sub_f16_e32 v57, v56, v57
	v_fmac_f16_e32 v128, 0xb9a8, v111
	v_fmac_f16_e32 v129, 0x39a8, v67
	v_fma_f16 v64, v64, 2.0, -v119
	v_fma_f16 v67, v115, 2.0, -v65
	;; [unrolled: 1-line block ×4, first 2 shown]
	v_fmac_f16_e32 v126, 0xb61f, v121
	v_fmac_f16_e32 v134, 0x361f, v127
	;; [unrolled: 1-line block ×7, first 2 shown]
	v_fma_f16 v56, v56, 2.0, -v57
	v_fma_f16 v116, v116, 2.0, -v69
	v_pack_b32_f16 v64, v64, v67
	v_pack_b32_f16 v67, v111, v68
	;; [unrolled: 1-line block ×3, first 2 shown]
	v_fma_f16 v69, v125, 2.0, -v126
	v_fma_f16 v111, v117, 2.0, -v134
	;; [unrolled: 1-line block ×10, first 2 shown]
	v_pack_b32_f16 v56, v56, v116
	v_pack_b32_f16 v69, v69, v111
	;; [unrolled: 1-line block ×13, first 2 shown]
	ds_write2_b32 v70, v56, v69 offset1:125
	ds_write2_b32 v99, v66, v110 offset0:122 offset1:247
	ds_write2_b32 v59, v64, v111 offset0:116 offset1:241
	;; [unrolled: 1-line block ×7, first 2 shown]
	s_waitcnt lgkmcnt(0)
	s_barrier
	buffer_gl0_inv
	global_load_dword v99, v[47:48], off offset:1856
	v_add_co_u32 v56, s0, 0x1f40, v53
	v_add_co_ci_u32_e64 v57, s0, 0, v54, s0
	v_add_co_u32 v64, s0, 0x3800, v53
	v_add_co_ci_u32_e64 v65, s0, 0, v54, s0
	s_clause 0x1
	global_load_dword v121, v[56:57], off offset:500
	global_load_dword v123, v[64:65], off offset:1064
	v_add_co_u32 v66, s0, 0x2800, v53
	v_add_co_ci_u32_e64 v67, s0, 0, v54, s0
	v_add_co_u32 v68, s1, 0x3000, v53
	s_clause 0x1
	global_load_dword v124, v[56:57], off offset:1600
	global_load_dword v125, v[66:67], off offset:960
	v_add_co_u32 v110, s0, 0x2000, v53
	v_add_co_ci_u32_e64 v69, s1, 0, v54, s1
	v_add_co_ci_u32_e64 v111, s0, 0, v54, s0
	s_clause 0x9
	global_load_dword v126, v[68:69], off offset:512
	global_load_dword v127, v[64:65], off offset:64
	;; [unrolled: 1-line block ×10, first 2 shown]
	ds_read2_b32 v[65:66], v70 offset1:125
	ds_read_b32 v135, v70 offset:7400
	v_add_nc_u32_e32 v112, 0x1800, v70
	v_add_nc_u32_e32 v110, 0x800, v70
	;; [unrolled: 1-line block ×3, first 2 shown]
	s_waitcnt lgkmcnt(1)
	v_lshrrev_b32_e32 v64, 16, v65
	v_lshrrev_b32_e32 v122, 16, v66
	s_waitcnt lgkmcnt(0)
	v_lshrrev_b32_e32 v136, 16, v135
	s_waitcnt vmcnt(14)
	v_mul_f16_sdwa v67, v64, v99 dst_sel:DWORD dst_unused:UNUSED_PAD src0_sel:DWORD src1_sel:WORD_1
	v_mul_f16_sdwa v68, v65, v99 dst_sel:DWORD dst_unused:UNUSED_PAD src0_sel:DWORD src1_sel:WORD_1
	v_fma_f16 v67, v65, v99, -v67
	v_fmac_f16_e32 v68, v64, v99
	v_add_nc_u32_e32 v64, 0x300, v70
	v_add_nc_u32_e32 v65, 0xc00, v70
	;; [unrolled: 1-line block ×3, first 2 shown]
	s_waitcnt vmcnt(13)
	v_mul_f16_sdwa v137, v122, v121 dst_sel:DWORD dst_unused:UNUSED_PAD src0_sel:DWORD src1_sel:WORD_1
	v_pack_b32_f16 v67, v67, v68
	v_mul_f16_sdwa v138, v66, v121 dst_sel:DWORD dst_unused:UNUSED_PAD src0_sel:DWORD src1_sel:WORD_1
	s_waitcnt vmcnt(12)
	v_mul_f16_sdwa v139, v136, v123 dst_sel:DWORD dst_unused:UNUSED_PAD src0_sel:DWORD src1_sel:WORD_1
	v_mul_f16_sdwa v140, v135, v123 dst_sel:DWORD dst_unused:UNUSED_PAD src0_sel:DWORD src1_sel:WORD_1
	v_fma_f16 v66, v66, v121, -v137
	ds_write_b32 v70, v67
	ds_read2_b32 v[67:68], v64 offset0:58 offset1:208
	ds_read2_b32 v[113:114], v65 offset0:32 offset1:157
	;; [unrolled: 1-line block ×5, first 2 shown]
	v_fmac_f16_e32 v138, v122, v121
	ds_read2_b32 v[121:122], v111 offset0:45 offset1:170
	v_fma_f16 v135, v135, v123, -v139
	v_fmac_f16_e32 v140, v136, v123
	v_pack_b32_f16 v66, v66, v138
	v_pack_b32_f16 v123, v135, v140
	s_waitcnt lgkmcnt(5)
	v_lshrrev_b32_e32 v135, 16, v68
	s_waitcnt vmcnt(11)
	v_mul_f16_sdwa v136, v68, v124 dst_sel:DWORD dst_unused:UNUSED_PAD src0_sel:DWORD src1_sel:WORD_1
	s_waitcnt lgkmcnt(4)
	v_lshrrev_b32_e32 v137, 16, v113
	s_waitcnt vmcnt(10)
	v_mul_f16_sdwa v138, v113, v125 dst_sel:DWORD dst_unused:UNUSED_PAD src0_sel:DWORD src1_sel:WORD_1
	;; [unrolled: 4-line block ×5, first 2 shown]
	v_lshrrev_b32_e32 v145, 16, v114
	s_waitcnt vmcnt(6)
	v_mul_f16_sdwa v146, v114, v129 dst_sel:DWORD dst_unused:UNUSED_PAD src0_sel:DWORD src1_sel:WORD_1
	s_waitcnt lgkmcnt(0)
	v_lshrrev_b32_e32 v147, 16, v121
	s_waitcnt vmcnt(5)
	v_mul_f16_sdwa v148, v121, v130 dst_sel:DWORD dst_unused:UNUSED_PAD src0_sel:DWORD src1_sel:WORD_1
	v_lshrrev_b32_e32 v149, 16, v118
	s_waitcnt vmcnt(4)
	v_mul_f16_sdwa v150, v118, v131 dst_sel:DWORD dst_unused:UNUSED_PAD src0_sel:DWORD src1_sel:WORD_1
	;; [unrolled: 3-line block ×5, first 2 shown]
	v_lshrrev_b32_e32 v157, 16, v122
	v_mul_f16_sdwa v159, v135, v124 dst_sel:DWORD dst_unused:UNUSED_PAD src0_sel:DWORD src1_sel:WORD_1
	v_fmac_f16_e32 v136, v135, v124
	v_mul_f16_sdwa v135, v137, v125 dst_sel:DWORD dst_unused:UNUSED_PAD src0_sel:DWORD src1_sel:WORD_1
	v_fmac_f16_e32 v138, v137, v125
	;; [unrolled: 2-line block ×10, first 2 shown]
	v_mul_f16_sdwa v153, v155, v134 dst_sel:DWORD dst_unused:UNUSED_PAD src0_sel:DWORD src1_sel:WORD_1
	s_waitcnt vmcnt(0)
	v_mul_f16_sdwa v158, v122, v69 dst_sel:DWORD dst_unused:UNUSED_PAD src0_sel:DWORD src1_sel:WORD_1
	v_fmac_f16_e32 v156, v155, v134
	v_mul_f16_sdwa v155, v157, v69 dst_sel:DWORD dst_unused:UNUSED_PAD src0_sel:DWORD src1_sel:WORD_1
	v_fma_f16 v68, v68, v124, -v159
	v_fma_f16 v119, v119, v128, -v141
	;; [unrolled: 1-line block ×9, first 2 shown]
	v_fmac_f16_e32 v158, v157, v69
	v_fma_f16 v117, v117, v127, -v139
	v_fma_f16 v118, v118, v131, -v147
	;; [unrolled: 1-line block ×3, first 2 shown]
	v_pack_b32_f16 v68, v68, v136
	v_pack_b32_f16 v119, v119, v144
	;; [unrolled: 1-line block ×12, first 2 shown]
	ds_write2_b32 v59, v68, v119 offset0:16 offset1:141
	ds_write2_b32 v63, v116, v121 offset0:48 offset1:173
	;; [unrolled: 1-line block ×7, first 2 shown]
	s_and_saveexec_b32 s1, vcc_lo
	s_cbranch_execz .LBB0_17
; %bb.16:
	v_add_co_u32 v58, s0, 0x800, v56
	v_add_co_ci_u32_e64 v59, s0, 0, v57, s0
	global_load_dword v62, v[56:57], off offset:1500
	v_add_co_u32 v60, s0, 0x1000, v56
	v_add_co_ci_u32_e64 v61, s0, 0, v57, s0
	v_add_co_u32 v56, s0, 0x1800, v56
	v_add_co_ci_u32_e64 v57, s0, 0, v57, s0
	s_clause 0x3
	global_load_dword v58, v[58:59], off offset:1052
	global_load_dword v59, v[60:61], off offset:604
	;; [unrolled: 1-line block ×4, first 2 shown]
	ds_read_b32 v57, v70 offset:1500
	ds_read_b32 v61, v70 offset:3100
	;; [unrolled: 1-line block ×5, first 2 shown]
	s_waitcnt lgkmcnt(4)
	v_lshrrev_b32_e32 v68, 16, v57
	s_waitcnt lgkmcnt(3)
	v_lshrrev_b32_e32 v69, 16, v61
	;; [unrolled: 2-line block ×5, first 2 shown]
	s_waitcnt vmcnt(4)
	v_mul_f16_sdwa v113, v68, v62 dst_sel:DWORD dst_unused:UNUSED_PAD src0_sel:DWORD src1_sel:WORD_1
	v_mul_f16_sdwa v114, v57, v62 dst_sel:DWORD dst_unused:UNUSED_PAD src0_sel:DWORD src1_sel:WORD_1
	v_fma_f16 v57, v57, v62, -v113
	v_fmac_f16_e32 v114, v68, v62
	s_waitcnt vmcnt(3)
	v_mul_f16_sdwa v62, v69, v58 dst_sel:DWORD dst_unused:UNUSED_PAD src0_sel:DWORD src1_sel:WORD_1
	v_mul_f16_sdwa v68, v61, v58 dst_sel:DWORD dst_unused:UNUSED_PAD src0_sel:DWORD src1_sel:WORD_1
	s_waitcnt vmcnt(2)
	v_mul_f16_sdwa v113, v115, v59 dst_sel:DWORD dst_unused:UNUSED_PAD src0_sel:DWORD src1_sel:WORD_1
	v_mul_f16_sdwa v118, v63, v59 dst_sel:DWORD dst_unused:UNUSED_PAD src0_sel:DWORD src1_sel:WORD_1
	;; [unrolled: 3-line block ×4, first 2 shown]
	v_fma_f16 v61, v61, v58, -v62
	v_fmac_f16_e32 v68, v69, v58
	v_fma_f16 v58, v63, v59, -v113
	v_fmac_f16_e32 v118, v115, v59
	;; [unrolled: 2-line block ×4, first 2 shown]
	v_pack_b32_f16 v56, v57, v114
	v_pack_b32_f16 v57, v61, v68
	;; [unrolled: 1-line block ×5, first 2 shown]
	ds_write_b32 v70, v56 offset:1500
	ds_write_b32 v70, v57 offset:3100
	;; [unrolled: 1-line block ×5, first 2 shown]
.LBB0_17:
	s_or_b32 exec_lo, exec_lo, s1
	s_waitcnt lgkmcnt(0)
	s_barrier
	buffer_gl0_inv
	ds_read2_b32 v[68:69], v70 offset1:125
	ds_read2_b32 v[62:63], v64 offset0:58 offset1:208
	ds_read2_b32 v[66:67], v65 offset0:32 offset1:157
	;; [unrolled: 1-line block ×6, first 2 shown]
	ds_read_b32 v114, v70 offset:7400
	s_and_saveexec_b32 s0, vcc_lo
	s_cbranch_execz .LBB0_19
; %bb.18:
	ds_read_b32 v108, v70 offset:1500
	ds_read_b32 v104, v70 offset:3100
	;; [unrolled: 1-line block ×5, first 2 shown]
	s_waitcnt lgkmcnt(4)
	v_lshrrev_b32_e32 v109, 16, v108
	s_waitcnt lgkmcnt(3)
	v_lshrrev_b32_e32 v106, 16, v104
	;; [unrolled: 2-line block ×5, first 2 shown]
.LBB0_19:
	s_or_b32 exec_lo, exec_lo, s0
	v_add_f16_e32 v99, v105, v101
	v_add_f16_e32 v111, v104, v108
	v_sub_f16_e32 v112, v106, v100
	v_sub_f16_e32 v117, v107, v102
	v_add_f16_e32 v113, v104, v103
	v_fma_f16 v110, -0.5, v99, v108
	v_sub_f16_e32 v99, v104, v105
	v_add_f16_e32 v118, v105, v111
	v_sub_f16_e32 v119, v103, v101
	v_fmac_f16_e32 v108, -0.5, v113
	v_fmamk_f16 v111, v112, 0xbb9c, v110
	v_fmac_f16_e32 v110, 0x3b9c, v112
	v_add_f16_e32 v118, v101, v118
	v_add_f16_e32 v119, v99, v119
	v_sub_f16_e32 v121, v105, v104
	v_fmac_f16_e32 v111, 0xb8b4, v117
	v_sub_f16_e32 v122, v101, v103
	v_fmac_f16_e32 v110, 0x38b4, v117
	v_fmamk_f16 v113, v117, 0x3b9c, v108
	v_add_f16_e32 v99, v103, v118
	v_fmac_f16_e32 v111, 0x34f2, v119
	v_add_f16_e32 v118, v121, v122
	v_fmac_f16_e32 v108, 0xbb9c, v117
	v_add_f16_e32 v117, v106, v109
	v_add_f16_e32 v121, v107, v102
	v_fmac_f16_e32 v110, 0x34f2, v119
	v_add_f16_e32 v119, v106, v100
	v_fmac_f16_e32 v113, 0xb8b4, v112
	v_fmac_f16_e32 v108, 0x38b4, v112
	v_add_f16_e32 v117, v107, v117
	v_fma_f16 v112, -0.5, v121, v109
	v_sub_f16_e32 v104, v104, v103
	v_sub_f16_e32 v105, v105, v101
	v_fmac_f16_e32 v109, -0.5, v119
	v_fmac_f16_e32 v113, 0x34f2, v118
	v_fmac_f16_e32 v108, 0x34f2, v118
	v_add_f16_e32 v117, v102, v117
	v_fmamk_f16 v101, v104, 0x3b9c, v112
	v_sub_f16_e32 v118, v106, v107
	v_sub_f16_e32 v119, v100, v102
	v_fmac_f16_e32 v112, 0xbb9c, v104
	v_fmamk_f16 v103, v105, 0xbb9c, v109
	v_sub_f16_e32 v106, v107, v106
	v_sub_f16_e32 v102, v102, v100
	v_fmac_f16_e32 v109, 0x3b9c, v105
	v_fmac_f16_e32 v101, 0x38b4, v105
	v_add_f16_e32 v107, v118, v119
	v_fmac_f16_e32 v112, 0xb8b4, v105
	v_fmac_f16_e32 v103, 0x38b4, v104
	v_add_f16_e32 v102, v106, v102
	v_fmac_f16_e32 v109, 0xb8b4, v104
	s_waitcnt lgkmcnt(4)
	v_pk_add_f16 v104, v66, v59
	s_waitcnt lgkmcnt(3)
	v_pk_add_f16 v105, v63, v64 neg_lo:[0,1] neg_hi:[0,1]
	v_pk_add_f16 v115, v68, v63
	v_add_f16_e32 v100, v100, v117
	v_fmac_f16_e32 v101, 0x34f2, v107
	v_fmac_f16_e32 v112, 0x34f2, v107
	;; [unrolled: 1-line block ×3, first 2 shown]
	v_pk_add_f16 v107, v66, v59 neg_lo:[0,1] neg_hi:[0,1]
	v_fmac_f16_e32 v109, 0x34f2, v102
	v_pk_fma_f16 v102, v104, 0.5, v68 op_sel_hi:[1,0,1] neg_lo:[1,0,0] neg_hi:[1,0,0]
	v_pk_mul_f16 v104, 0x3b9c, v105 op_sel_hi:[0,1]
	v_pk_add_f16 v117, v63, v64
	v_pk_add_f16 v106, v115, v66
	v_pk_mul_f16 v115, 0x38b4, v107 op_sel_hi:[0,1]
	v_pk_mul_f16 v107, 0x3b9c, v107 op_sel_hi:[0,1]
	v_pk_add_f16 v119, v102, v104 op_sel:[0,1] op_sel_hi:[1,0] neg_lo:[0,1] neg_hi:[0,1]
	v_pk_add_f16 v102, v102, v104 op_sel:[0,1] op_sel_hi:[1,0]
	v_pk_fma_f16 v68, v117, 0.5, v68 op_sel_hi:[1,0,1] neg_lo:[1,0,0] neg_hi:[1,0,0]
	v_pk_add_f16 v118, v63, v66 neg_lo:[0,1] neg_hi:[0,1]
	v_pk_add_f16 v104, v64, v59 neg_lo:[0,1] neg_hi:[0,1]
	v_pk_add_f16 v117, v119, v115 op_sel:[0,1] op_sel_hi:[1,0] neg_lo:[0,1] neg_hi:[0,1]
	v_pk_add_f16 v102, v102, v115 op_sel:[0,1] op_sel_hi:[1,0]
	v_pk_mul_f16 v105, 0x38b4, v105 op_sel_hi:[0,1]
	v_pk_add_f16 v115, v68, v107 op_sel:[0,1] op_sel_hi:[1,0]
	v_pk_add_f16 v68, v68, v107 op_sel:[0,1] op_sel_hi:[1,0] neg_lo:[0,1] neg_hi:[0,1]
	v_pk_add_f16 v106, v106, v59
	v_pk_add_f16 v104, v118, v104
	v_bfi_b32 v107, 0xffff, v117, v102
	v_pk_add_f16 v63, v66, v63 neg_lo:[0,1] neg_hi:[0,1]
	v_pk_add_f16 v59, v59, v64 neg_lo:[0,1] neg_hi:[0,1]
	v_pk_add_f16 v66, v115, v105 op_sel:[0,1] op_sel_hi:[1,0] neg_lo:[0,1] neg_hi:[0,1]
	v_pk_add_f16 v68, v68, v105 op_sel:[0,1] op_sel_hi:[1,0]
	v_pk_add_f16 v64, v106, v64
	v_pk_fma_f16 v105, 0x34f2, v104, v107 op_sel_hi:[0,1,1]
	v_pk_add_f16 v59, v63, v59
	s_waitcnt lgkmcnt(0)
	v_bfi_b32 v63, 0xffff, v66, v68
	v_bfi_b32 v66, 0xffff, v68, v66
	s_barrier
	buffer_gl0_inv
	ds_write2_b32 v88, v64, v105 offset1:1
	v_pk_fma_f16 v63, 0x34f2, v59, v63 op_sel_hi:[0,1,1]
	v_pk_fma_f16 v59, 0x34f2, v59, v66 op_sel_hi:[0,1,1]
	v_bfi_b32 v64, 0xffff, v102, v117
	v_pk_add_f16 v66, v67, v56
	v_pk_add_f16 v68, v60, v65 neg_lo:[0,1] neg_hi:[0,1]
	v_pk_add_f16 v116, v69, v60
	v_pk_add_f16 v105, v67, v56 neg_lo:[0,1] neg_hi:[0,1]
	v_pk_fma_f16 v64, 0x34f2, v104, v64 op_sel_hi:[0,1,1]
	v_pk_fma_f16 v66, v66, 0.5, v69 op_sel_hi:[1,0,1] neg_lo:[1,0,0] neg_hi:[1,0,0]
	v_pk_mul_f16 v104, 0x3b9c, v68 op_sel_hi:[0,1]
	v_pk_add_f16 v107, v60, v65
	v_pk_add_f16 v102, v116, v67
	v_pk_mul_f16 v106, 0x38b4, v105 op_sel_hi:[0,1]
	v_pk_mul_f16 v105, 0x3b9c, v105 op_sel_hi:[0,1]
	v_pk_add_f16 v116, v66, v104 op_sel:[0,1] op_sel_hi:[1,0] neg_lo:[0,1] neg_hi:[0,1]
	v_pk_add_f16 v66, v66, v104 op_sel:[0,1] op_sel_hi:[1,0]
	v_pk_fma_f16 v69, v107, 0.5, v69 op_sel_hi:[1,0,1] neg_lo:[1,0,0] neg_hi:[1,0,0]
	v_pk_add_f16 v115, v60, v67 neg_lo:[0,1] neg_hi:[0,1]
	v_pk_add_f16 v104, v65, v56 neg_lo:[0,1] neg_hi:[0,1]
	v_pk_add_f16 v107, v116, v106 op_sel:[0,1] op_sel_hi:[1,0] neg_lo:[0,1] neg_hi:[0,1]
	v_pk_add_f16 v66, v66, v106 op_sel:[0,1] op_sel_hi:[1,0]
	v_pk_mul_f16 v68, 0x38b4, v68 op_sel_hi:[0,1]
	v_pk_add_f16 v106, v69, v105 op_sel:[0,1] op_sel_hi:[1,0]
	v_pk_add_f16 v69, v69, v105 op_sel:[0,1] op_sel_hi:[1,0] neg_lo:[0,1] neg_hi:[0,1]
	v_pk_add_f16 v102, v102, v56
	v_pk_add_f16 v104, v115, v104
	v_bfi_b32 v105, 0xffff, v107, v66
	v_pk_add_f16 v60, v67, v60 neg_lo:[0,1] neg_hi:[0,1]
	v_pk_add_f16 v56, v56, v65 neg_lo:[0,1] neg_hi:[0,1]
	v_pk_add_f16 v67, v106, v68 op_sel:[0,1] op_sel_hi:[1,0] neg_lo:[0,1] neg_hi:[0,1]
	v_pk_add_f16 v68, v69, v68 op_sel:[0,1] op_sel_hi:[1,0]
	v_pk_add_f16 v65, v102, v65
	v_pk_fma_f16 v69, 0x34f2, v104, v105 op_sel_hi:[0,1,1]
	ds_write2_b32 v88, v63, v59 offset0:2 offset1:3
	v_pk_add_f16 v56, v60, v56
	v_bfi_b32 v59, 0xffff, v67, v68
	ds_write_b32 v88, v64 offset:16
	ds_write2_b32 v87, v65, v69 offset1:1
	v_bfi_b32 v60, 0xffff, v68, v67
	v_bfi_b32 v63, 0xffff, v66, v107
	v_pk_add_f16 v64, v58, v57
	v_pk_add_f16 v65, v61, v114 neg_lo:[0,1] neg_hi:[0,1]
	v_pk_fma_f16 v59, 0x34f2, v56, v59 op_sel_hi:[0,1,1]
	v_pk_fma_f16 v56, 0x34f2, v56, v60 op_sel_hi:[0,1,1]
	;; [unrolled: 1-line block ×3, first 2 shown]
	v_pk_add_f16 v63, v58, v57 neg_lo:[0,1] neg_hi:[0,1]
	v_pk_fma_f16 v64, v64, 0.5, v62 op_sel_hi:[1,0,1] neg_lo:[1,0,0] neg_hi:[1,0,0]
	v_pk_mul_f16 v66, 0x3b9c, v65 op_sel_hi:[0,1]
	v_pk_add_f16 v67, v61, v114
	v_pk_add_f16 v120, v62, v61
	v_pk_mul_f16 v69, 0x38b4, v63 op_sel_hi:[0,1]
	v_pk_mul_f16 v63, 0x3b9c, v63 op_sel_hi:[0,1]
	v_pk_add_f16 v102, v64, v66 op_sel:[0,1] op_sel_hi:[1,0] neg_lo:[0,1] neg_hi:[0,1]
	v_pk_fma_f16 v62, v67, 0.5, v62 op_sel_hi:[1,0,1] neg_lo:[1,0,0] neg_hi:[1,0,0]
	v_pk_add_f16 v64, v64, v66 op_sel:[0,1] op_sel_hi:[1,0]
	v_pk_mul_f16 v65, 0x38b4, v65 op_sel_hi:[0,1]
	v_pk_add_f16 v68, v120, v58
	v_pk_add_f16 v66, v102, v69 op_sel:[0,1] op_sel_hi:[1,0] neg_lo:[0,1] neg_hi:[0,1]
	v_pk_add_f16 v102, v62, v63 op_sel:[0,1] op_sel_hi:[1,0]
	v_pk_add_f16 v62, v62, v63 op_sel:[0,1] op_sel_hi:[1,0] neg_lo:[0,1] neg_hi:[0,1]
	v_pk_add_f16 v88, v61, v58 neg_lo:[0,1] neg_hi:[0,1]
	v_pk_add_f16 v67, v114, v57 neg_lo:[0,1] neg_hi:[0,1]
	v_pk_add_f16 v63, v64, v69 op_sel:[0,1] op_sel_hi:[1,0]
	v_pk_add_f16 v58, v58, v61 neg_lo:[0,1] neg_hi:[0,1]
	v_pk_add_f16 v61, v57, v114 neg_lo:[0,1] neg_hi:[0,1]
	v_pk_add_f16 v64, v102, v65 op_sel:[0,1] op_sel_hi:[1,0] neg_lo:[0,1] neg_hi:[0,1]
	v_pk_add_f16 v62, v62, v65 op_sel:[0,1] op_sel_hi:[1,0]
	v_pk_add_f16 v57, v68, v57
	v_pk_add_f16 v65, v88, v67
	v_bfi_b32 v67, 0xffff, v66, v63
	v_pk_add_f16 v58, v58, v61
	v_bfi_b32 v61, 0xffff, v64, v62
	v_bfi_b32 v62, 0xffff, v62, v64
	;; [unrolled: 1-line block ×3, first 2 shown]
	v_pk_add_f16 v57, v57, v114
	v_pk_fma_f16 v64, 0x34f2, v65, v67 op_sel_hi:[0,1,1]
	v_pk_fma_f16 v61, 0x34f2, v58, v61 op_sel_hi:[0,1,1]
	;; [unrolled: 1-line block ×4, first 2 shown]
	ds_write2_b32 v87, v59, v56 offset0:2 offset1:3
	ds_write_b32 v87, v60 offset:16
	ds_write2_b32 v89, v57, v64 offset1:1
	ds_write2_b32 v89, v61, v58 offset0:2 offset1:3
	ds_write_b32 v89, v62 offset:16
	s_and_saveexec_b32 s0, vcc_lo
	s_cbranch_execz .LBB0_21
; %bb.20:
	v_lshlrev_b32_e32 v56, 2, v90
	v_perm_b32 v57, v101, v111, 0x5040100
	v_perm_b32 v58, v100, v99, 0x5040100
	v_perm_b32 v59, v109, v108, 0x5040100
	v_perm_b32 v60, v103, v113, 0x5040100
	v_perm_b32 v61, v112, v110, 0x5040100
	ds_write2_b32 v56, v58, v57 offset1:1
	ds_write2_b32 v56, v60, v59 offset0:2 offset1:3
	ds_write_b32 v56, v61 offset:16
.LBB0_21:
	s_or_b32 exec_lo, exec_lo, s0
	v_add_nc_u32_e32 v60, 0xc00, v70
	v_add_nc_u32_e32 v56, 0x300, v70
	;; [unrolled: 1-line block ×6, first 2 shown]
	s_waitcnt lgkmcnt(0)
	s_barrier
	buffer_gl0_inv
	ds_read2_b32 v[58:59], v70 offset1:125
	ds_read2_b32 v[56:57], v56 offset0:58 offset1:208
	ds_read2_b32 v[68:69], v60 offset0:32 offset1:157
	;; [unrolled: 1-line block ×6, first 2 shown]
	ds_read_b32 v90, v70 offset:7400
	s_and_saveexec_b32 s0, vcc_lo
	s_cbranch_execz .LBB0_23
; %bb.22:
	ds_read_b32 v99, v70 offset:1500
	ds_read_b32 v111, v70 offset:3100
	;; [unrolled: 1-line block ×5, first 2 shown]
	s_waitcnt lgkmcnt(4)
	v_lshrrev_b32_e32 v100, 16, v99
	s_waitcnt lgkmcnt(3)
	v_lshrrev_b32_e32 v101, 16, v111
	s_waitcnt lgkmcnt(2)
	v_lshrrev_b32_e32 v103, 16, v113
	s_waitcnt lgkmcnt(1)
	v_lshrrev_b32_e32 v109, 16, v108
	s_waitcnt lgkmcnt(0)
	v_lshrrev_b32_e32 v112, 16, v110
.LBB0_23:
	s_or_b32 exec_lo, exec_lo, s0
	s_waitcnt lgkmcnt(6)
	v_lshrrev_b32_e32 v102, 16, v57
	s_waitcnt lgkmcnt(5)
	v_lshrrev_b32_e32 v104, 16, v68
	;; [unrolled: 2-line block ×5, first 2 shown]
	v_mul_f16_sdwa v119, v12, v102 dst_sel:DWORD dst_unused:UNUSED_PAD src0_sel:WORD_1 src1_sel:DWORD
	v_mul_f16_sdwa v121, v13, v104 dst_sel:DWORD dst_unused:UNUSED_PAD src0_sel:WORD_1 src1_sel:DWORD
	;; [unrolled: 1-line block ×3, first 2 shown]
	v_lshrrev_b32_e32 v114, 16, v69
	s_waitcnt lgkmcnt(1)
	v_lshrrev_b32_e32 v115, 16, v62
	v_fmac_f16_e32 v119, v12, v57
	v_fmac_f16_e32 v121, v13, v68
	v_mul_f16_sdwa v57, v13, v68 dst_sel:DWORD dst_unused:UNUSED_PAD src0_sel:WORD_1 src1_sel:DWORD
	v_mul_f16_sdwa v68, v14, v105 dst_sel:DWORD dst_unused:UNUSED_PAD src0_sel:WORD_1 src1_sel:DWORD
	v_fma_f16 v12, v12, v102, -v120
	v_mul_f16_sdwa v102, v14, v61 dst_sel:DWORD dst_unused:UNUSED_PAD src0_sel:WORD_1 src1_sel:DWORD
	v_mul_f16_sdwa v120, v15, v106 dst_sel:DWORD dst_unused:UNUSED_PAD src0_sel:WORD_1 src1_sel:DWORD
	v_fma_f16 v13, v13, v104, -v57
	v_fmac_f16_e32 v68, v14, v61
	v_mul_f16_sdwa v57, v8, v107 dst_sel:DWORD dst_unused:UNUSED_PAD src0_sel:WORD_1 src1_sel:DWORD
	v_mul_f16_sdwa v61, v8, v64 dst_sel:DWORD dst_unused:UNUSED_PAD src0_sel:WORD_1 src1_sel:DWORD
	v_lshrrev_b32_e32 v116, 16, v67
	v_lshrrev_b32_e32 v117, 16, v65
	;; [unrolled: 1-line block ×3, first 2 shown]
	v_mul_f16_sdwa v124, v15, v66 dst_sel:DWORD dst_unused:UNUSED_PAD src0_sel:WORD_1 src1_sel:DWORD
	v_fma_f16 v14, v14, v105, -v102
	v_fmac_f16_e32 v120, v15, v66
	v_mul_f16_sdwa v66, v9, v114 dst_sel:DWORD dst_unused:UNUSED_PAD src0_sel:WORD_1 src1_sel:DWORD
	v_mul_f16_sdwa v102, v9, v69 dst_sel:DWORD dst_unused:UNUSED_PAD src0_sel:WORD_1 src1_sel:DWORD
	;; [unrolled: 1-line block ×3, first 2 shown]
	v_fmac_f16_e32 v57, v8, v64
	v_fma_f16 v8, v8, v107, -v61
	v_mul_f16_sdwa v61, v10, v62 dst_sel:DWORD dst_unused:UNUSED_PAD src0_sel:WORD_1 src1_sel:DWORD
	v_lshrrev_b32_e32 v122, 16, v63
	s_waitcnt lgkmcnt(0)
	v_lshrrev_b32_e32 v123, 16, v90
	v_fmac_f16_e32 v66, v9, v69
	v_fma_f16 v9, v9, v114, -v102
	v_fmac_f16_e32 v104, v10, v62
	v_mul_f16_sdwa v62, v11, v116 dst_sel:DWORD dst_unused:UNUSED_PAD src0_sel:WORD_1 src1_sel:DWORD
	v_mul_f16_sdwa v64, v11, v67 dst_sel:DWORD dst_unused:UNUSED_PAD src0_sel:WORD_1 src1_sel:DWORD
	;; [unrolled: 1-line block ×4, first 2 shown]
	v_fma_f16 v10, v10, v115, -v61
	v_mul_f16_sdwa v61, v5, v118 dst_sel:DWORD dst_unused:UNUSED_PAD src0_sel:WORD_1 src1_sel:DWORD
	v_fmac_f16_e32 v62, v11, v67
	v_fma_f16 v11, v11, v116, -v64
	v_fmac_f16_e32 v69, v4, v65
	v_fma_f16 v4, v4, v117, -v102
	v_mul_f16_sdwa v64, v5, v60 dst_sel:DWORD dst_unused:UNUSED_PAD src0_sel:WORD_1 src1_sel:DWORD
	v_mul_f16_sdwa v65, v6, v122 dst_sel:DWORD dst_unused:UNUSED_PAD src0_sel:WORD_1 src1_sel:DWORD
	;; [unrolled: 1-line block ×4, first 2 shown]
	v_fmac_f16_e32 v61, v5, v60
	v_mul_f16_sdwa v60, v7, v90 dst_sel:DWORD dst_unused:UNUSED_PAD src0_sel:WORD_1 src1_sel:DWORD
	v_fma_f16 v15, v15, v106, -v124
	v_fma_f16 v5, v5, v118, -v64
	v_fmac_f16_e32 v65, v6, v63
	v_fma_f16 v6, v6, v122, -v67
	v_fmac_f16_e32 v102, v7, v90
	v_mul_f16_sdwa v63, v0, v101 dst_sel:DWORD dst_unused:UNUSED_PAD src0_sel:WORD_1 src1_sel:DWORD
	v_mul_f16_sdwa v64, v0, v111 dst_sel:DWORD dst_unused:UNUSED_PAD src0_sel:WORD_1 src1_sel:DWORD
	;; [unrolled: 1-line block ×4, first 2 shown]
	v_fma_f16 v7, v7, v123, -v60
	v_add_f16_e32 v60, v121, v68
	v_fmac_f16_e32 v63, v0, v111
	v_fma_f16 v0, v0, v101, -v64
	v_fmac_f16_e32 v67, v1, v113
	v_fma_f16 v1, v1, v103, -v90
	v_mul_f16_sdwa v64, v2, v109 dst_sel:DWORD dst_unused:UNUSED_PAD src0_sel:WORD_1 src1_sel:DWORD
	v_mul_f16_sdwa v90, v2, v108 dst_sel:DWORD dst_unused:UNUSED_PAD src0_sel:WORD_1 src1_sel:DWORD
	;; [unrolled: 1-line block ×3, first 2 shown]
	v_add_f16_e32 v103, v58, v119
	v_fma_f16 v105, -0.5, v60, v58
	v_sub_f16_e32 v60, v12, v15
	v_lshrrev_b32_e32 v89, 16, v58
	v_fmac_f16_e32 v64, v2, v108
	v_fma_f16 v2, v2, v109, -v90
	v_fmac_f16_e32 v101, v3, v110
	v_add_f16_e32 v90, v103, v121
	v_fmamk_f16 v103, v60, 0xbb9c, v105
	v_sub_f16_e32 v106, v13, v14
	v_sub_f16_e32 v107, v119, v121
	;; [unrolled: 1-line block ×3, first 2 shown]
	v_add_f16_e32 v109, v119, v120
	v_mul_f16_sdwa v110, v3, v110 dst_sel:DWORD dst_unused:UNUSED_PAD src0_sel:WORD_1 src1_sel:DWORD
	v_fmac_f16_e32 v105, 0x3b9c, v60
	v_fmac_f16_e32 v103, 0xb8b4, v106
	v_add_f16_e32 v107, v107, v108
	v_fma_f16 v108, -0.5, v109, v58
	v_fma_f16 v3, v3, v112, -v110
	v_sub_f16_e32 v58, v121, v119
	v_sub_f16_e32 v110, v68, v120
	v_fmac_f16_e32 v105, 0x38b4, v106
	v_add_f16_e32 v111, v89, v12
	v_add_f16_e32 v112, v13, v14
	v_fmac_f16_e32 v103, 0x34f2, v107
	v_fmamk_f16 v109, v106, 0x3b9c, v108
	v_add_f16_e32 v58, v58, v110
	v_fmac_f16_e32 v108, 0xbb9c, v106
	v_add_f16_e32 v106, v111, v13
	v_fma_f16 v110, -0.5, v112, v89
	v_sub_f16_e32 v111, v119, v120
	v_fmac_f16_e32 v105, 0x34f2, v107
	v_add_f16_e32 v107, v12, v15
	v_sub_f16_e32 v112, v12, v13
	v_sub_f16_e32 v12, v13, v12
	;; [unrolled: 1-line block ×3, first 2 shown]
	v_add_f16_e32 v90, v90, v68
	v_fmac_f16_e32 v109, 0xb8b4, v60
	v_fmac_f16_e32 v108, 0x38b4, v60
	v_add_f16_e32 v60, v106, v14
	v_fmamk_f16 v106, v111, 0x3b9c, v110
	v_sub_f16_e32 v68, v121, v68
	v_sub_f16_e32 v113, v15, v14
	v_fmac_f16_e32 v89, -0.5, v107
	v_fmac_f16_e32 v110, 0xbb9c, v111
	v_add_f16_e32 v14, v66, v104
	v_add_f16_e32 v12, v12, v13
	;; [unrolled: 1-line block ×3, first 2 shown]
	v_lshrrev_b32_e32 v88, 16, v59
	v_fmac_f16_e32 v109, 0x34f2, v58
	v_fmac_f16_e32 v108, 0x34f2, v58
	;; [unrolled: 1-line block ×3, first 2 shown]
	v_add_f16_e32 v58, v112, v113
	v_fmamk_f16 v112, v68, 0xbb9c, v89
	v_fmac_f16_e32 v110, 0xb8b4, v68
	v_fma_f16 v113, -0.5, v14, v59
	v_sub_f16_e32 v14, v8, v11
	v_fmac_f16_e32 v89, 0x3b9c, v68
	v_add_f16_e32 v13, v13, v66
	v_add_f16_e32 v114, v57, v62
	;; [unrolled: 1-line block ×3, first 2 shown]
	v_fmac_f16_e32 v106, 0x34f2, v58
	v_fmac_f16_e32 v112, 0x38b4, v111
	;; [unrolled: 1-line block ×3, first 2 shown]
	v_fmamk_f16 v68, v14, 0xbb9c, v113
	v_sub_f16_e32 v15, v9, v10
	v_sub_f16_e32 v58, v57, v66
	;; [unrolled: 1-line block ×3, first 2 shown]
	v_fmac_f16_e32 v89, 0xb8b4, v111
	v_add_f16_e32 v13, v13, v104
	v_fmac_f16_e32 v59, -0.5, v114
	v_fmac_f16_e32 v113, 0x3b9c, v14
	v_add_f16_e32 v114, v88, v8
	v_fmac_f16_e32 v112, 0x34f2, v12
	v_fmac_f16_e32 v68, 0xb8b4, v15
	v_add_f16_e32 v58, v58, v60
	v_fmac_f16_e32 v89, 0x34f2, v12
	v_add_f16_e32 v12, v13, v62
	v_fmamk_f16 v13, v15, 0x3b9c, v59
	v_sub_f16_e32 v60, v66, v57
	v_sub_f16_e32 v111, v104, v62
	v_fmac_f16_e32 v113, 0x38b4, v15
	v_add_f16_e32 v115, v9, v10
	v_fmac_f16_e32 v59, 0xbb9c, v15
	v_add_f16_e32 v15, v114, v9
	;; [unrolled: 2-line block ×3, first 2 shown]
	v_fma_f16 v111, -0.5, v115, v88
	v_sub_f16_e32 v57, v57, v62
	v_fmac_f16_e32 v59, 0x38b4, v14
	v_add_f16_e32 v14, v15, v10
	v_add_f16_e32 v15, v8, v11
	v_sub_f16_e32 v62, v8, v9
	v_sub_f16_e32 v8, v9, v8
	v_sub_f16_e32 v9, v10, v11
	v_fmac_f16_e32 v68, 0x34f2, v58
	v_fmac_f16_e32 v113, 0x34f2, v58
	v_fmamk_f16 v114, v57, 0x3b9c, v111
	v_sub_f16_e32 v58, v66, v104
	v_sub_f16_e32 v66, v11, v10
	v_fmac_f16_e32 v88, -0.5, v15
	v_fmac_f16_e32 v111, 0xbb9c, v57
	v_add_f16_e32 v10, v61, v65
	v_add_f16_e32 v8, v8, v9
	;; [unrolled: 1-line block ×3, first 2 shown]
	v_lshrrev_b32_e32 v87, 16, v56
	v_fmac_f16_e32 v13, 0x34f2, v60
	v_fmac_f16_e32 v59, 0x34f2, v60
	v_add_f16_e32 v104, v14, v11
	v_fmac_f16_e32 v114, 0x38b4, v58
	v_add_f16_e32 v14, v62, v66
	v_fmamk_f16 v66, v58, 0xbb9c, v88
	v_fmac_f16_e32 v111, 0xb8b4, v58
	v_fma_f16 v10, -0.5, v10, v56
	v_sub_f16_e32 v11, v4, v7
	v_fmac_f16_e32 v88, 0x3b9c, v58
	v_add_f16_e32 v9, v9, v61
	v_add_f16_e32 v60, v69, v102
	v_fmac_f16_e32 v114, 0x34f2, v14
	v_fmac_f16_e32 v66, 0x38b4, v57
	;; [unrolled: 1-line block ×3, first 2 shown]
	v_fmamk_f16 v115, v11, 0xbb9c, v10
	v_sub_f16_e32 v14, v5, v6
	v_sub_f16_e32 v15, v69, v61
	;; [unrolled: 1-line block ×3, first 2 shown]
	v_fmac_f16_e32 v88, 0xb8b4, v57
	v_add_f16_e32 v9, v9, v65
	v_fmac_f16_e32 v56, -0.5, v60
	v_fmac_f16_e32 v10, 0x3b9c, v11
	v_add_f16_e32 v60, v87, v4
	v_fmac_f16_e32 v66, 0x34f2, v8
	v_fmac_f16_e32 v115, 0xb8b4, v14
	v_add_f16_e32 v15, v15, v58
	v_fmac_f16_e32 v88, 0x34f2, v8
	v_add_f16_e32 v8, v9, v102
	v_fmamk_f16 v9, v14, 0x3b9c, v56
	v_sub_f16_e32 v57, v61, v69
	v_sub_f16_e32 v58, v65, v102
	v_fmac_f16_e32 v10, 0x38b4, v14
	v_add_f16_e32 v62, v5, v6
	v_fmac_f16_e32 v56, 0xbb9c, v14
	v_add_f16_e32 v14, v60, v5
	;; [unrolled: 2-line block ×3, first 2 shown]
	v_fma_f16 v116, -0.5, v62, v87
	v_sub_f16_e32 v58, v69, v102
	v_fmac_f16_e32 v56, 0x38b4, v11
	v_add_f16_e32 v11, v14, v6
	v_add_f16_e32 v14, v4, v7
	v_fmac_f16_e32 v115, 0x34f2, v15
	v_fmac_f16_e32 v10, 0x34f2, v15
	v_fmamk_f16 v69, v58, 0x3b9c, v116
	v_sub_f16_e32 v15, v61, v65
	v_sub_f16_e32 v60, v4, v5
	;; [unrolled: 1-line block ×3, first 2 shown]
	v_fmac_f16_e32 v87, -0.5, v14
	v_fmac_f16_e32 v116, 0xbb9c, v58
	v_sub_f16_e32 v4, v5, v4
	v_sub_f16_e32 v5, v6, v7
	v_add_f16_e32 v6, v67, v64
	v_fmac_f16_e32 v9, 0x34f2, v57
	v_fmac_f16_e32 v56, 0x34f2, v57
	;; [unrolled: 1-line block ×3, first 2 shown]
	v_add_f16_e32 v14, v60, v61
	v_fmamk_f16 v65, v15, 0xbb9c, v87
	v_fmac_f16_e32 v116, 0xb8b4, v15
	v_add_f16_e32 v4, v4, v5
	v_fmac_f16_e32 v87, 0x3b9c, v15
	v_add_f16_e32 v5, v63, v99
	v_fma_f16 v57, -0.5, v6, v99
	v_sub_f16_e32 v6, v0, v3
	v_add_f16_e32 v60, v63, v101
	v_add_f16_e32 v11, v11, v7
	v_fmac_f16_e32 v69, 0x34f2, v14
	v_fmac_f16_e32 v65, 0x38b4, v58
	;; [unrolled: 1-line block ×4, first 2 shown]
	v_add_f16_e32 v5, v67, v5
	v_fmamk_f16 v58, v6, 0xbb9c, v57
	v_sub_f16_e32 v7, v1, v2
	v_sub_f16_e32 v14, v63, v67
	;; [unrolled: 1-line block ×3, first 2 shown]
	v_fmac_f16_e32 v57, 0x3b9c, v6
	v_fmac_f16_e32 v99, -0.5, v60
	v_add_f16_e32 v5, v64, v5
	v_fmac_f16_e32 v58, 0xb8b4, v7
	v_add_f16_e32 v15, v14, v15
	v_fmac_f16_e32 v57, 0x38b4, v7
	v_fmamk_f16 v60, v7, 0x3b9c, v99
	v_fmac_f16_e32 v99, 0xbb9c, v7
	v_add_f16_e32 v7, v0, v100
	v_fmac_f16_e32 v65, 0x34f2, v4
	v_fmac_f16_e32 v87, 0x34f2, v4
	v_add_f16_e32 v14, v101, v5
	v_fmac_f16_e32 v58, 0x34f2, v15
	v_fmac_f16_e32 v57, 0x34f2, v15
	v_add_f16_e32 v4, v1, v2
	v_sub_f16_e32 v5, v67, v63
	v_sub_f16_e32 v15, v64, v101
	v_fmac_f16_e32 v60, 0xb8b4, v6
	v_fmac_f16_e32 v99, 0x38b4, v6
	v_add_f16_e32 v6, v1, v7
	v_add_f16_e32 v7, v0, v3
	v_fma_f16 v61, -0.5, v4, v100
	v_add_f16_e32 v5, v5, v15
	v_sub_f16_e32 v15, v67, v64
	v_sub_f16_e32 v4, v63, v101
	v_fmac_f16_e32 v100, -0.5, v7
	v_sub_f16_e32 v7, v3, v2
	v_fmac_f16_e32 v60, 0x34f2, v5
	v_fmac_f16_e32 v99, 0x34f2, v5
	v_add_f16_e32 v5, v2, v6
	v_sub_f16_e32 v6, v0, v1
	v_fmamk_f16 v63, v15, 0xbb9c, v100
	v_sub_f16_e32 v0, v1, v0
	v_sub_f16_e32 v1, v2, v3
	v_fmac_f16_e32 v100, 0x3b9c, v15
	v_fmamk_f16 v62, v4, 0x3b9c, v61
	v_fmac_f16_e32 v61, 0xbb9c, v4
	v_add_f16_e32 v90, v90, v120
	v_fmac_f16_e32 v63, 0x38b4, v4
	v_add_f16_e32 v0, v0, v1
	v_fmac_f16_e32 v100, 0xb8b4, v4
	v_fmac_f16_e32 v62, 0x38b4, v15
	v_add_f16_e32 v2, v6, v7
	v_fmac_f16_e32 v61, 0xb8b4, v15
	v_fmac_f16_e32 v63, 0x34f2, v0
	;; [unrolled: 1-line block ×3, first 2 shown]
	v_pack_b32_f16 v0, v90, v107
	v_pack_b32_f16 v1, v103, v106
	v_add_f16_e32 v15, v3, v5
	v_fmac_f16_e32 v62, 0x34f2, v2
	v_fmac_f16_e32 v61, 0x34f2, v2
	v_pack_b32_f16 v2, v109, v112
	v_pack_b32_f16 v3, v108, v89
	;; [unrolled: 1-line block ×5, first 2 shown]
	s_barrier
	buffer_gl0_inv
	ds_write2_b32 v94, v0, v1 offset1:5
	ds_write2_b32 v94, v2, v3 offset0:10 offset1:15
	ds_write_b32 v94, v4 offset:80
	ds_write2_b32 v93, v5, v6 offset1:5
	v_pack_b32_f16 v0, v13, v66
	v_pack_b32_f16 v1, v59, v88
	;; [unrolled: 1-line block ×8, first 2 shown]
	ds_write2_b32 v93, v0, v1 offset0:10 offset1:15
	ds_write_b32 v93, v2 offset:80
	ds_write2_b32 v95, v3, v4 offset1:5
	ds_write2_b32 v95, v5, v6 offset0:10 offset1:15
	ds_write_b32 v95, v7 offset:80
	s_and_saveexec_b32 s0, vcc_lo
	s_cbranch_execz .LBB0_25
; %bb.24:
	v_mov_b32_e32 v0, 2
	v_perm_b32 v1, v15, v14, 0x5040100
	v_perm_b32 v2, v62, v58, 0x5040100
	;; [unrolled: 1-line block ×4, first 2 shown]
	v_lshlrev_b32_sdwa v0, v0, v92 dst_sel:DWORD dst_unused:UNUSED_PAD src0_sel:DWORD src1_sel:WORD_0
	v_perm_b32 v5, v61, v57, 0x5040100
	ds_write2_b32 v0, v1, v2 offset1:5
	ds_write2_b32 v0, v3, v4 offset0:10 offset1:15
	ds_write_b32 v0, v5 offset:80
.LBB0_25:
	s_or_b32 exec_lo, exec_lo, s0
	v_add_nc_u32_e32 v4, 0xc00, v70
	v_add_nc_u32_e32 v0, 0x300, v70
	v_add_nc_u32_e32 v5, 0x1000, v70
	v_add_nc_u32_e32 v8, 0x1800, v70
	v_add_nc_u32_e32 v9, 0x800, v70
	v_add_nc_u32_e32 v56, 0x1400, v70
	s_waitcnt lgkmcnt(0)
	s_barrier
	buffer_gl0_inv
	ds_read2_b32 v[2:3], v70 offset1:125
	ds_read2_b32 v[0:1], v0 offset0:58 offset1:208
	ds_read2_b32 v[12:13], v4 offset0:32 offset1:157
	;; [unrolled: 1-line block ×6, first 2 shown]
	ds_read_b32 v56, v70 offset:7400
	s_and_saveexec_b32 s0, vcc_lo
	s_cbranch_execz .LBB0_27
; %bb.26:
	ds_read_b32 v14, v70 offset:1500
	ds_read_b32 v58, v70 offset:3100
	;; [unrolled: 1-line block ×5, first 2 shown]
	s_waitcnt lgkmcnt(4)
	v_lshrrev_b32_e32 v15, 16, v14
	s_waitcnt lgkmcnt(3)
	v_lshrrev_b32_e32 v62, 16, v58
	;; [unrolled: 2-line block ×5, first 2 shown]
.LBB0_27:
	s_or_b32 exec_lo, exec_lo, s0
	s_waitcnt lgkmcnt(6)
	v_lshrrev_b32_e32 v64, 16, v1
	s_waitcnt lgkmcnt(5)
	v_lshrrev_b32_e32 v65, 16, v12
	;; [unrolled: 2-line block ×5, first 2 shown]
	v_mul_f16_sdwa v101, v28, v64 dst_sel:DWORD dst_unused:UNUSED_PAD src0_sel:WORD_1 src1_sel:DWORD
	v_mul_f16_sdwa v102, v28, v1 dst_sel:DWORD dst_unused:UNUSED_PAD src0_sel:WORD_1 src1_sel:DWORD
	;; [unrolled: 1-line block ×5, first 2 shown]
	v_lshrrev_b32_e32 v87, 16, v13
	s_waitcnt lgkmcnt(1)
	v_lshrrev_b32_e32 v88, 16, v4
	v_fmac_f16_e32 v101, v28, v1
	v_fma_f16 v1, v28, v64, -v102
	v_fmac_f16_e32 v103, v29, v12
	v_fma_f16 v12, v29, v65, -v104
	v_fmac_f16_e32 v105, v30, v7
	v_mul_f16_sdwa v7, v30, v7 dst_sel:DWORD dst_unused:UNUSED_PAD src0_sel:WORD_1 src1_sel:DWORD
	v_mul_f16_sdwa v28, v31, v67 dst_sel:DWORD dst_unused:UNUSED_PAD src0_sel:WORD_1 src1_sel:DWORD
	;; [unrolled: 1-line block ×5, first 2 shown]
	v_lshrrev_b32_e32 v89, 16, v11
	v_lshrrev_b32_e32 v92, 16, v9
	v_fma_f16 v7, v30, v66, -v7
	v_fmac_f16_e32 v28, v31, v10
	v_fma_f16 v10, v31, v67, -v29
	v_fmac_f16_e32 v64, v20, v8
	v_fma_f16 v8, v20, v69, -v65
	v_mul_f16_sdwa v20, v21, v87 dst_sel:DWORD dst_unused:UNUSED_PAD src0_sel:WORD_1 src1_sel:DWORD
	v_mul_f16_sdwa v29, v21, v13 dst_sel:DWORD dst_unused:UNUSED_PAD src0_sel:WORD_1 src1_sel:DWORD
	;; [unrolled: 1-line block ×4, first 2 shown]
	v_lshrrev_b32_e32 v93, 16, v6
	v_mul_f16_sdwa v65, v23, v89 dst_sel:DWORD dst_unused:UNUSED_PAD src0_sel:WORD_1 src1_sel:DWORD
	v_fmac_f16_e32 v20, v21, v13
	v_fma_f16 v13, v21, v87, -v29
	v_fmac_f16_e32 v30, v22, v4
	v_fma_f16 v4, v22, v88, -v31
	v_mul_f16_sdwa v21, v24, v92 dst_sel:DWORD dst_unused:UNUSED_PAD src0_sel:WORD_1 src1_sel:DWORD
	v_mul_f16_sdwa v22, v24, v9 dst_sel:DWORD dst_unused:UNUSED_PAD src0_sel:WORD_1 src1_sel:DWORD
	v_lshrrev_b32_e32 v94, 16, v5
	s_waitcnt lgkmcnt(0)
	v_lshrrev_b32_e32 v95, 16, v56
	v_fmac_f16_e32 v65, v23, v11
	v_mul_f16_sdwa v11, v23, v11 dst_sel:DWORD dst_unused:UNUSED_PAD src0_sel:WORD_1 src1_sel:DWORD
	v_mul_f16_sdwa v29, v25, v93 dst_sel:DWORD dst_unused:UNUSED_PAD src0_sel:WORD_1 src1_sel:DWORD
	;; [unrolled: 1-line block ×3, first 2 shown]
	v_fmac_f16_e32 v21, v24, v9
	v_fma_f16 v9, v24, v92, -v22
	v_add_f16_e32 v22, v103, v105
	v_lshrrev_b32_e32 v59, 16, v2
	v_fma_f16 v11, v23, v89, -v11
	v_fmac_f16_e32 v29, v25, v6
	v_fma_f16 v6, v25, v93, -v31
	v_mul_f16_sdwa v23, v26, v94 dst_sel:DWORD dst_unused:UNUSED_PAD src0_sel:WORD_1 src1_sel:DWORD
	v_mul_f16_sdwa v24, v26, v5 dst_sel:DWORD dst_unused:UNUSED_PAD src0_sel:WORD_1 src1_sel:DWORD
	;; [unrolled: 1-line block ×3, first 2 shown]
	v_add_f16_e32 v31, v2, v101
	v_fma_f16 v22, -0.5, v22, v2
	v_sub_f16_e32 v66, v1, v10
	v_add_f16_e32 v87, v101, v28
	v_fmac_f16_e32 v23, v26, v5
	v_fma_f16 v5, v26, v94, -v24
	v_fmac_f16_e32 v25, v27, v56
	v_add_f16_e32 v24, v31, v103
	v_fmamk_f16 v26, v66, 0xbb9c, v22
	v_sub_f16_e32 v31, v12, v7
	v_sub_f16_e32 v67, v101, v103
	;; [unrolled: 1-line block ×3, first 2 shown]
	v_mul_f16_sdwa v56, v27, v56 dst_sel:DWORD dst_unused:UNUSED_PAD src0_sel:WORD_1 src1_sel:DWORD
	v_fma_f16 v2, -0.5, v87, v2
	v_fmac_f16_e32 v22, 0x3b9c, v66
	v_add_f16_e32 v88, v59, v1
	v_add_f16_e32 v24, v24, v105
	v_fmac_f16_e32 v26, 0xb8b4, v31
	v_add_f16_e32 v67, v67, v69
	v_fma_f16 v27, v27, v95, -v56
	v_fmamk_f16 v56, v31, 0x3b9c, v2
	v_sub_f16_e32 v69, v103, v101
	v_sub_f16_e32 v87, v105, v28
	v_fmac_f16_e32 v22, 0x38b4, v31
	v_add_f16_e32 v89, v12, v7
	v_fmac_f16_e32 v2, 0xbb9c, v31
	v_add_f16_e32 v31, v88, v12
	v_add_f16_e32 v24, v24, v28
	v_fmac_f16_e32 v26, 0x34f2, v67
	v_add_f16_e32 v69, v69, v87
	v_fma_f16 v87, -0.5, v89, v59
	v_sub_f16_e32 v28, v101, v28
	v_fmac_f16_e32 v22, 0x34f2, v67
	v_add_f16_e32 v31, v31, v7
	v_add_f16_e32 v67, v1, v10
	v_sub_f16_e32 v89, v1, v12
	v_sub_f16_e32 v92, v10, v7
	v_sub_f16_e32 v1, v12, v1
	v_sub_f16_e32 v7, v7, v10
	v_fmac_f16_e32 v56, 0xb8b4, v66
	v_fmac_f16_e32 v2, 0x38b4, v66
	v_fmamk_f16 v66, v28, 0x3b9c, v87
	v_sub_f16_e32 v88, v103, v105
	v_fmac_f16_e32 v59, -0.5, v67
	v_add_f16_e32 v31, v31, v10
	v_fmac_f16_e32 v87, 0xbb9c, v28
	v_add_f16_e32 v10, v20, v30
	v_add_f16_e32 v1, v1, v7
	v_add_f16_e32 v7, v3, v64
	v_lshrrev_b32_e32 v68, 16, v3
	v_fmac_f16_e32 v56, 0x34f2, v69
	v_fmac_f16_e32 v2, 0x34f2, v69
	v_fmac_f16_e32 v66, 0x38b4, v88
	v_add_f16_e32 v67, v89, v92
	v_fmamk_f16 v69, v88, 0xbb9c, v59
	v_fmac_f16_e32 v87, 0xb8b4, v88
	v_fma_f16 v10, -0.5, v10, v3
	v_sub_f16_e32 v12, v8, v11
	v_fmac_f16_e32 v59, 0x3b9c, v88
	v_add_f16_e32 v7, v7, v20
	v_add_f16_e32 v93, v64, v65
	v_fmac_f16_e32 v66, 0x34f2, v67
	v_fmac_f16_e32 v69, 0x38b4, v28
	;; [unrolled: 1-line block ×3, first 2 shown]
	v_fmamk_f16 v67, v12, 0xbb9c, v10
	v_sub_f16_e32 v88, v13, v4
	v_sub_f16_e32 v89, v64, v20
	;; [unrolled: 1-line block ×3, first 2 shown]
	v_fmac_f16_e32 v59, 0xb8b4, v28
	v_add_f16_e32 v7, v7, v30
	v_fmac_f16_e32 v3, -0.5, v93
	v_fmac_f16_e32 v10, 0x3b9c, v12
	v_add_f16_e32 v93, v68, v8
	v_fmac_f16_e32 v69, 0x34f2, v1
	v_fmac_f16_e32 v67, 0xb8b4, v88
	v_add_f16_e32 v28, v89, v92
	v_fmac_f16_e32 v59, 0x34f2, v1
	v_add_f16_e32 v1, v7, v65
	v_fmamk_f16 v7, v88, 0x3b9c, v3
	v_sub_f16_e32 v89, v20, v64
	v_sub_f16_e32 v92, v30, v65
	v_fmac_f16_e32 v10, 0x38b4, v88
	v_add_f16_e32 v94, v13, v4
	v_fmac_f16_e32 v3, 0xbb9c, v88
	v_add_f16_e32 v88, v93, v13
	;; [unrolled: 2-line block ×3, first 2 shown]
	v_fma_f16 v92, -0.5, v94, v68
	v_sub_f16_e32 v64, v64, v65
	v_fmac_f16_e32 v3, 0x38b4, v12
	v_add_f16_e32 v12, v88, v4
	v_add_f16_e32 v65, v8, v11
	v_fmac_f16_e32 v67, 0x34f2, v28
	v_fmac_f16_e32 v10, 0x34f2, v28
	v_fmamk_f16 v28, v64, 0x3b9c, v92
	v_sub_f16_e32 v20, v20, v30
	v_sub_f16_e32 v30, v8, v13
	;; [unrolled: 1-line block ×3, first 2 shown]
	v_fmac_f16_e32 v68, -0.5, v65
	v_add_f16_e32 v12, v12, v11
	v_fmac_f16_e32 v92, 0xbb9c, v64
	v_sub_f16_e32 v8, v13, v8
	v_sub_f16_e32 v4, v4, v11
	v_add_f16_e32 v11, v29, v23
	v_fmac_f16_e32 v28, 0x38b4, v20
	v_add_f16_e32 v30, v30, v88
	v_fmamk_f16 v65, v20, 0xbb9c, v68
	v_fmac_f16_e32 v92, 0xb8b4, v20
	v_add_f16_e32 v4, v8, v4
	v_fmac_f16_e32 v68, 0x3b9c, v20
	v_add_f16_e32 v8, v0, v21
	v_fma_f16 v11, -0.5, v11, v0
	v_sub_f16_e32 v13, v9, v27
	v_fmac_f16_e32 v7, 0x34f2, v89
	v_fmac_f16_e32 v3, 0x34f2, v89
	v_fmac_f16_e32 v28, 0x34f2, v30
	v_fmac_f16_e32 v65, 0x38b4, v64
	v_fmac_f16_e32 v92, 0x34f2, v30
	v_fmac_f16_e32 v68, 0xb8b4, v64
	v_add_f16_e32 v8, v8, v29
	v_fmamk_f16 v20, v13, 0xbb9c, v11
	v_sub_f16_e32 v30, v6, v5
	v_sub_f16_e32 v64, v21, v29
	;; [unrolled: 1-line block ×3, first 2 shown]
	v_fmac_f16_e32 v11, 0x3b9c, v13
	v_add_f16_e32 v89, v21, v25
	v_lshrrev_b32_e32 v90, 16, v0
	v_add_f16_e32 v8, v8, v23
	v_fmac_f16_e32 v20, 0xb8b4, v30
	v_add_f16_e32 v64, v64, v88
	v_fmac_f16_e32 v11, 0x38b4, v30
	v_fmac_f16_e32 v0, -0.5, v89
	v_sub_f16_e32 v88, v29, v21
	v_sub_f16_e32 v89, v23, v25
	v_fmac_f16_e32 v65, 0x34f2, v4
	v_fmac_f16_e32 v68, 0x34f2, v4
	v_add_f16_e32 v4, v8, v25
	v_fmac_f16_e32 v20, 0x34f2, v64
	v_fmac_f16_e32 v11, 0x34f2, v64
	v_fmamk_f16 v8, v30, 0x3b9c, v0
	v_add_f16_e32 v64, v6, v5
	v_fmac_f16_e32 v0, 0xbb9c, v30
	v_add_f16_e32 v30, v90, v9
	v_sub_f16_e32 v21, v21, v25
	v_add_f16_e32 v25, v88, v89
	v_add_f16_e32 v88, v9, v27
	v_fma_f16 v64, -0.5, v64, v90
	v_fmac_f16_e32 v8, 0xb8b4, v13
	v_fmac_f16_e32 v0, 0x38b4, v13
	v_add_f16_e32 v13, v30, v6
	v_sub_f16_e32 v23, v29, v23
	v_fmac_f16_e32 v90, -0.5, v88
	v_fmamk_f16 v30, v21, 0x3b9c, v64
	v_fmac_f16_e32 v8, 0x34f2, v25
	v_fmac_f16_e32 v0, 0x34f2, v25
	v_add_f16_e32 v13, v13, v5
	v_sub_f16_e32 v25, v9, v6
	v_sub_f16_e32 v29, v27, v5
	v_fmac_f16_e32 v64, 0xbb9c, v21
	v_fmamk_f16 v88, v23, 0xbb9c, v90
	v_sub_f16_e32 v6, v6, v9
	v_sub_f16_e32 v5, v5, v27
	v_fmac_f16_e32 v90, 0x3b9c, v23
	v_fmac_f16_e32 v30, 0x38b4, v23
	v_add_f16_e32 v9, v25, v29
	v_fmac_f16_e32 v64, 0xb8b4, v23
	v_fmac_f16_e32 v88, 0x38b4, v21
	v_add_f16_e32 v5, v6, v5
	v_fmac_f16_e32 v90, 0xb8b4, v21
	v_fmac_f16_e32 v30, 0x34f2, v9
	;; [unrolled: 1-line block ×3, first 2 shown]
	v_pack_b32_f16 v9, v26, v66
	v_fmac_f16_e32 v88, 0x34f2, v5
	v_fmac_f16_e32 v90, 0x34f2, v5
	v_pack_b32_f16 v5, v24, v31
	v_add_f16_e32 v6, v13, v27
	v_pack_b32_f16 v13, v56, v69
	v_pack_b32_f16 v2, v2, v59
	;; [unrolled: 1-line block ×5, first 2 shown]
	s_barrier
	buffer_gl0_inv
	ds_write2_b32 v98, v5, v9 offset1:25
	ds_write2_b32 v98, v13, v2 offset0:50 offset1:75
	ds_write_b32 v98, v21 offset:400
	ds_write2_b32 v97, v1, v12 offset1:25
	v_pack_b32_f16 v1, v7, v65
	v_pack_b32_f16 v2, v3, v68
	v_pack_b32_f16 v3, v10, v92
	v_pack_b32_f16 v4, v4, v6
	v_pack_b32_f16 v5, v20, v30
	v_pack_b32_f16 v6, v8, v88
	v_pack_b32_f16 v0, v0, v90
	v_pack_b32_f16 v7, v11, v64
	ds_write2_b32 v97, v1, v2 offset0:50 offset1:75
	ds_write_b32 v97, v3 offset:400
	ds_write2_b32 v96, v4, v5 offset1:25
	ds_write2_b32 v96, v6, v0 offset0:50 offset1:75
	ds_write_b32 v96, v7 offset:400
	s_and_saveexec_b32 s0, vcc_lo
	s_cbranch_execz .LBB0_29
; %bb.28:
	v_mul_f16_sdwa v0, v16, v58 dst_sel:DWORD dst_unused:UNUSED_PAD src0_sel:WORD_1 src1_sel:DWORD
	v_mul_f16_sdwa v1, v19, v57 dst_sel:DWORD dst_unused:UNUSED_PAD src0_sel:WORD_1 src1_sel:DWORD
	;; [unrolled: 1-line block ×5, first 2 shown]
	v_fma_f16 v0, v16, v62, -v0
	v_mul_f16_sdwa v6, v18, v100 dst_sel:DWORD dst_unused:UNUSED_PAD src0_sel:WORD_1 src1_sel:DWORD
	v_fma_f16 v1, v19, v61, -v1
	v_mul_f16_sdwa v4, v16, v62 dst_sel:DWORD dst_unused:UNUSED_PAD src0_sel:WORD_1 src1_sel:DWORD
	;; [unrolled: 2-line block ×3, first 2 shown]
	v_fma_f16 v2, v18, v100, -v2
	v_fmac_f16_e32 v5, v17, v60
	v_fmac_f16_e32 v6, v18, v99
	v_add_f16_e32 v12, v0, v1
	v_fmac_f16_e32 v4, v16, v58
	v_fmac_f16_e32 v8, v19, v57
	v_sub_f16_e32 v10, v3, v0
	v_sub_f16_e32 v11, v2, v1
	;; [unrolled: 1-line block ×3, first 2 shown]
	v_add_f16_e32 v16, v3, v2
	v_fma_f16 v12, -0.5, v12, v15
	v_add_f16_e32 v7, v0, v15
	v_add_f16_e32 v10, v10, v11
	v_sub_f16_e32 v11, v4, v8
	v_fmac_f16_e32 v15, -0.5, v16
	v_fmamk_f16 v16, v13, 0x3b9c, v12
	v_fmac_f16_e32 v12, 0xbb9c, v13
	v_sub_f16_e32 v17, v0, v3
	v_sub_f16_e32 v18, v1, v2
	v_fmamk_f16 v19, v11, 0xbb9c, v15
	v_fmac_f16_e32 v15, 0x3b9c, v11
	v_fmac_f16_e32 v16, 0xb8b4, v11
	;; [unrolled: 1-line block ×3, first 2 shown]
	v_add_f16_e32 v9, v4, v14
	v_add_f16_e32 v7, v3, v7
	;; [unrolled: 1-line block ×3, first 2 shown]
	v_fmac_f16_e32 v19, 0xb8b4, v13
	v_fmac_f16_e32 v15, 0x38b4, v13
	;; [unrolled: 1-line block ×3, first 2 shown]
	v_add_f16_e32 v13, v4, v8
	v_fmac_f16_e32 v12, 0x34f2, v10
	v_add_f16_e32 v10, v5, v6
	v_add_f16_e32 v9, v5, v9
	;; [unrolled: 1-line block ×3, first 2 shown]
	v_fmac_f16_e32 v19, 0x34f2, v11
	v_fmac_f16_e32 v15, 0x34f2, v11
	v_fma_f16 v11, -0.5, v13, v14
	v_sub_f16_e32 v0, v0, v1
	v_fmac_f16_e32 v14, -0.5, v10
	v_sub_f16_e32 v2, v3, v2
	v_add_f16_e32 v9, v6, v9
	v_add_f16_e32 v7, v1, v7
	v_sub_f16_e32 v3, v5, v4
	v_sub_f16_e32 v1, v6, v8
	;; [unrolled: 1-line block ×4, first 2 shown]
	v_fmamk_f16 v6, v0, 0x3b9c, v14
	v_fmac_f16_e32 v14, 0xbb9c, v0
	v_fmamk_f16 v10, v2, 0xbb9c, v11
	v_fmac_f16_e32 v11, 0x3b9c, v2
	v_add_f16_e32 v1, v3, v1
	v_add_f16_e32 v3, v4, v5
	v_fmac_f16_e32 v14, 0xb8b4, v2
	v_mov_b32_e32 v4, 2
	v_fmac_f16_e32 v10, 0x38b4, v0
	v_fmac_f16_e32 v11, 0xb8b4, v0
	;; [unrolled: 1-line block ×3, first 2 shown]
	v_add_f16_e32 v9, v8, v9
	v_fmac_f16_e32 v14, 0x34f2, v3
	v_lshlrev_b32_sdwa v0, v4, v91 dst_sel:DWORD dst_unused:UNUSED_PAD src0_sel:DWORD src1_sel:WORD_0
	v_fmac_f16_e32 v10, 0x34f2, v1
	v_fmac_f16_e32 v11, 0x34f2, v1
	;; [unrolled: 1-line block ×3, first 2 shown]
	v_pack_b32_f16 v1, v9, v7
	v_pack_b32_f16 v2, v14, v15
	v_add_nc_u32_e32 v3, 0x1c00, v0
	v_pack_b32_f16 v4, v11, v12
	v_pack_b32_f16 v5, v10, v16
	;; [unrolled: 1-line block ×3, first 2 shown]
	ds_write2_b32 v3, v1, v2 offset0:83 offset1:108
	ds_write2_b32 v3, v4, v5 offset0:133 offset1:158
	ds_write_b32 v0, v6 offset:7900
.LBB0_29:
	s_or_b32 exec_lo, exec_lo, s0
	v_add_nc_u32_e32 v16, 0x200, v70
	s_waitcnt lgkmcnt(0)
	s_barrier
	buffer_gl0_inv
	ds_read2_b32 v[0:1], v70 offset1:125
	ds_read2_b32 v[2:3], v16 offset0:122 offset1:247
	v_add_nc_u32_e32 v17, 0x600, v70
	v_add_nc_u32_e32 v18, 0xa00, v70
	;; [unrolled: 1-line block ×5, first 2 shown]
	ds_read2_b32 v[4:5], v17 offset0:116 offset1:241
	ds_read2_b32 v[6:7], v18 offset0:110 offset1:235
	;; [unrolled: 1-line block ×4, first 2 shown]
	v_add_nc_u32_e32 v22, 0x1a00, v70
	ds_read2_b32 v[12:13], v21 offset0:92 offset1:217
	ds_read2_b32 v[14:15], v22 offset0:86 offset1:211
	s_mov_b32 s4, 0xd2f1a9fc
	s_mov_b32 s5, 0x3f40624d
	s_waitcnt lgkmcnt(7)
	v_lshrrev_b32_e32 v24, 16, v1
	s_waitcnt lgkmcnt(6)
	v_lshrrev_b32_e32 v25, 16, v2
	v_lshrrev_b32_e32 v26, 16, v3
	v_mul_f16_sdwa v64, v40, v1 dst_sel:DWORD dst_unused:UNUSED_PAD src0_sel:WORD_1 src1_sel:DWORD
	v_mul_f16_sdwa v65, v41, v2 dst_sel:DWORD dst_unused:UNUSED_PAD src0_sel:WORD_1 src1_sel:DWORD
	v_mul_f16_sdwa v60, v40, v24 dst_sel:DWORD dst_unused:UNUSED_PAD src0_sel:WORD_1 src1_sel:DWORD
	v_lshrrev_b32_e32 v23, 16, v0
	s_waitcnt lgkmcnt(5)
	v_lshrrev_b32_e32 v27, 16, v4
	v_mul_f16_sdwa v66, v42, v26 dst_sel:DWORD dst_unused:UNUSED_PAD src0_sel:WORD_1 src1_sel:DWORD
	v_fma_f16 v24, v40, v24, -v64
	v_fmac_f16_e32 v60, v40, v1
	v_mul_f16_sdwa v1, v41, v25 dst_sel:DWORD dst_unused:UNUSED_PAD src0_sel:WORD_1 src1_sel:DWORD
	v_mul_f16_sdwa v40, v42, v3 dst_sel:DWORD dst_unused:UNUSED_PAD src0_sel:WORD_1 src1_sel:DWORD
	v_lshrrev_b32_e32 v28, 16, v5
	s_waitcnt lgkmcnt(4)
	v_lshrrev_b32_e32 v29, 16, v6
	v_fmac_f16_e32 v66, v42, v3
	v_fmac_f16_e32 v1, v41, v2
	v_fma_f16 v2, v41, v25, -v65
	v_mul_f16_sdwa v3, v43, v27 dst_sel:DWORD dst_unused:UNUSED_PAD src0_sel:WORD_1 src1_sel:DWORD
	v_fma_f16 v25, v42, v26, -v40
	v_mul_f16_sdwa v26, v43, v4 dst_sel:DWORD dst_unused:UNUSED_PAD src0_sel:WORD_1 src1_sel:DWORD
	v_lshrrev_b32_e32 v30, 16, v7
	s_waitcnt lgkmcnt(3)
	v_lshrrev_b32_e32 v31, 16, v8
	v_mul_f16_sdwa v40, v36, v28 dst_sel:DWORD dst_unused:UNUSED_PAD src0_sel:WORD_1 src1_sel:DWORD
	v_mul_f16_sdwa v41, v36, v5 dst_sel:DWORD dst_unused:UNUSED_PAD src0_sel:WORD_1 src1_sel:DWORD
	v_fmac_f16_e32 v3, v43, v4
	v_mul_f16_sdwa v4, v37, v29 dst_sel:DWORD dst_unused:UNUSED_PAD src0_sel:WORD_1 src1_sel:DWORD
	v_fma_f16 v26, v43, v27, -v26
	v_mul_f16_sdwa v27, v37, v6 dst_sel:DWORD dst_unused:UNUSED_PAD src0_sel:WORD_1 src1_sel:DWORD
	v_lshrrev_b32_e32 v56, 16, v9
	s_waitcnt lgkmcnt(2)
	v_lshrrev_b32_e32 v57, 16, v10
	v_fmac_f16_e32 v40, v36, v5
	v_fma_f16 v5, v36, v28, -v41
	v_fmac_f16_e32 v4, v37, v6
	v_mul_f16_sdwa v6, v38, v30 dst_sel:DWORD dst_unused:UNUSED_PAD src0_sel:WORD_1 src1_sel:DWORD
	v_mul_f16_sdwa v28, v38, v7 dst_sel:DWORD dst_unused:UNUSED_PAD src0_sel:WORD_1 src1_sel:DWORD
	;; [unrolled: 1-line block ×3, first 2 shown]
	v_fma_f16 v27, v37, v29, -v27
	v_mul_f16_sdwa v29, v39, v8 dst_sel:DWORD dst_unused:UNUSED_PAD src0_sel:WORD_1 src1_sel:DWORD
	v_lshrrev_b32_e32 v58, 16, v11
	v_fmac_f16_e32 v6, v38, v7
	v_fma_f16 v7, v38, v30, -v28
	v_fmac_f16_e32 v36, v39, v8
	v_mul_f16_sdwa v8, v32, v56 dst_sel:DWORD dst_unused:UNUSED_PAD src0_sel:WORD_1 src1_sel:DWORD
	v_fma_f16 v28, v39, v31, -v29
	v_mul_f16_sdwa v30, v33, v57 dst_sel:DWORD dst_unused:UNUSED_PAD src0_sel:WORD_1 src1_sel:DWORD
	v_mul_f16_sdwa v31, v33, v10 dst_sel:DWORD dst_unused:UNUSED_PAD src0_sel:WORD_1 src1_sel:DWORD
	s_waitcnt lgkmcnt(1)
	v_lshrrev_b32_e32 v59, 16, v12
	v_mul_f16_sdwa v29, v32, v9 dst_sel:DWORD dst_unused:UNUSED_PAD src0_sel:WORD_1 src1_sel:DWORD
	v_fmac_f16_e32 v8, v32, v9
	v_mul_f16_sdwa v9, v34, v58 dst_sel:DWORD dst_unused:UNUSED_PAD src0_sel:WORD_1 src1_sel:DWORD
	v_fmac_f16_e32 v30, v33, v10
	v_fma_f16 v10, v33, v57, -v31
	v_mul_f16_sdwa v31, v34, v11 dst_sel:DWORD dst_unused:UNUSED_PAD src0_sel:WORD_1 src1_sel:DWORD
	v_lshrrev_b32_e32 v61, 16, v13
	v_fma_f16 v29, v32, v56, -v29
	v_fmac_f16_e32 v9, v34, v11
	v_mul_f16_sdwa v11, v35, v59 dst_sel:DWORD dst_unused:UNUSED_PAD src0_sel:WORD_1 src1_sel:DWORD
	v_mul_f16_sdwa v32, v35, v12 dst_sel:DWORD dst_unused:UNUSED_PAD src0_sel:WORD_1 src1_sel:DWORD
	v_fma_f16 v31, v34, v58, -v31
	v_mul_f16_sdwa v34, v44, v13 dst_sel:DWORD dst_unused:UNUSED_PAD src0_sel:WORD_1 src1_sel:DWORD
	s_waitcnt lgkmcnt(0)
	v_lshrrev_b32_e32 v62, 16, v14
	v_mul_f16_sdwa v33, v44, v61 dst_sel:DWORD dst_unused:UNUSED_PAD src0_sel:WORD_1 src1_sel:DWORD
	v_fmac_f16_e32 v11, v35, v12
	v_fma_f16 v12, v35, v59, -v32
	v_fma_f16 v32, v44, v61, -v34
	v_mul_f16_sdwa v34, v45, v14 dst_sel:DWORD dst_unused:UNUSED_PAD src0_sel:WORD_1 src1_sel:DWORD
	v_lshrrev_b32_e32 v63, 16, v15
	v_fmac_f16_e32 v33, v44, v13
	v_mul_f16_sdwa v13, v45, v62 dst_sel:DWORD dst_unused:UNUSED_PAD src0_sel:WORD_1 src1_sel:DWORD
	v_sub_f16_e32 v28, v23, v28
	v_fma_f16 v34, v45, v62, -v34
	v_mul_f16_sdwa v35, v46, v63 dst_sel:DWORD dst_unused:UNUSED_PAD src0_sel:WORD_1 src1_sel:DWORD
	v_sub_f16_e32 v12, v26, v12
	v_fmac_f16_e32 v13, v45, v14
	v_sub_f16_e32 v10, v2, v10
	v_sub_f16_e32 v34, v27, v34
	v_mul_f16_sdwa v37, v46, v15 dst_sel:DWORD dst_unused:UNUSED_PAD src0_sel:WORD_1 src1_sel:DWORD
	v_sub_f16_e32 v14, v0, v36
	v_fmac_f16_e32 v35, v46, v15
	v_sub_f16_e32 v11, v3, v11
	v_sub_f16_e32 v30, v1, v30
	v_fma_f16 v23, v23, 2.0, -v28
	v_fma_f16 v26, v26, 2.0, -v12
	v_sub_f16_e32 v13, v4, v13
	v_fma_f16 v2, v2, 2.0, -v10
	v_fma_f16 v27, v27, 2.0, -v34
	v_fma_f16 v15, v46, v63, -v37
	v_fma_f16 v3, v3, 2.0, -v11
	v_sub_f16_e32 v8, v60, v8
	v_fma_f16 v4, v4, 2.0, -v13
	v_sub_f16_e32 v33, v40, v33
	v_sub_f16_e32 v9, v66, v9
	;; [unrolled: 1-line block ×4, first 2 shown]
	v_add_f16_e32 v12, v14, v12
	v_sub_f16_e32 v11, v28, v11
	v_sub_f16_e32 v27, v2, v27
	v_add_f16_e32 v34, v30, v34
	v_sub_f16_e32 v13, v10, v13
	v_fma_f16 v0, v0, 2.0, -v14
	v_fma_f16 v1, v1, 2.0, -v30
	v_sub_f16_e32 v29, v24, v29
	v_fma_f16 v36, v60, 2.0, -v8
	v_sub_f16_e32 v32, v5, v32
	;; [unrolled: 2-line block ×3, first 2 shown]
	v_sub_f16_e32 v15, v7, v15
	v_fma_f16 v38, v66, 2.0, -v9
	v_fma_f16 v6, v6, 2.0, -v35
	;; [unrolled: 1-line block ×10, first 2 shown]
	v_sub_f16_e32 v37, v36, v37
	v_add_f16_e32 v32, v8, v32
	v_sub_f16_e32 v33, v29, v33
	v_sub_f16_e32 v6, v38, v6
	v_add_f16_e32 v15, v9, v15
	v_sub_f16_e32 v35, v31, v35
	v_fmamk_f16 v39, v30, 0xb9a8, v14
	v_sub_f16_e32 v2, v23, v2
	v_fmamk_f16 v40, v10, 0xb9a8, v28
	v_fma_f16 v24, v24, 2.0, -v29
	v_fma_f16 v25, v25, 2.0, -v31
	;; [unrolled: 1-line block ×8, first 2 shown]
	v_fmac_f16_e32 v39, 0x39a8, v10
	v_fma_f16 v10, v23, 2.0, -v2
	v_fmac_f16_e32 v40, 0xb9a8, v30
	v_fmamk_f16 v23, v34, 0x39a8, v12
	v_fmamk_f16 v30, v13, 0x39a8, v11
	v_sub_f16_e32 v3, v0, v3
	v_sub_f16_e32 v4, v1, v4
	;; [unrolled: 1-line block ×3, first 2 shown]
	v_fmac_f16_e32 v23, 0x39a8, v13
	v_fma_f16 v13, v28, 2.0, -v40
	v_fmac_f16_e32 v30, 0xb9a8, v34
	v_fmamk_f16 v28, v9, 0xb9a8, v8
	v_sub_f16_e32 v34, v36, v38
	v_fmamk_f16 v38, v31, 0xb9a8, v29
	v_sub_f16_e32 v7, v25, v7
	v_fma_f16 v1, v1, 2.0, -v4
	v_fmac_f16_e32 v28, 0x39a8, v31
	v_fma_f16 v14, v14, 2.0, -v39
	v_fmac_f16_e32 v38, 0xb9a8, v9
	v_fmamk_f16 v9, v15, 0x39a8, v32
	v_fma_f16 v25, v25, 2.0, -v7
	v_add_f16_e32 v27, v3, v27
	v_sub_f16_e32 v4, v26, v4
	v_fma_f16 v31, v36, 2.0, -v34
	v_fma_f16 v8, v8, 2.0, -v28
	v_add_f16_e32 v7, v37, v7
	v_sub_f16_e32 v6, v5, v6
	v_fmamk_f16 v36, v35, 0x39a8, v33
	v_fmac_f16_e32 v9, 0x39a8, v35
	v_fma_f16 v29, v29, 2.0, -v38
	v_fma_f16 v0, v0, 2.0, -v3
	;; [unrolled: 1-line block ×7, first 2 shown]
	v_fmac_f16_e32 v36, 0xb9a8, v15
	v_fma_f16 v15, v32, 2.0, -v9
	v_fmamk_f16 v32, v8, 0xbb64, v14
	v_fmamk_f16 v37, v29, 0xbb64, v13
	v_fma_f16 v11, v11, 2.0, -v30
	v_fma_f16 v33, v33, 2.0, -v36
	;; [unrolled: 1-line block ×3, first 2 shown]
	v_fmac_f16_e32 v32, 0x361f, v29
	v_fmamk_f16 v29, v35, 0xb9a8, v3
	v_fmac_f16_e32 v37, 0xb61f, v8
	v_fmamk_f16 v8, v5, 0xb9a8, v26
	v_sub_f16_e32 v1, v0, v1
	v_sub_f16_e32 v25, v24, v25
	v_fmac_f16_e32 v29, 0x39a8, v5
	v_fmamk_f16 v5, v33, 0xb61f, v11
	v_fmac_f16_e32 v8, 0xb9a8, v35
	v_fmamk_f16 v41, v15, 0xb61f, v12
	v_fma_f16 v0, v0, 2.0, -v1
	v_fma_f16 v24, v24, 2.0, -v25
	v_fmac_f16_e32 v5, 0xbb64, v15
	v_fma_f16 v15, v26, 2.0, -v8
	v_fmamk_f16 v26, v28, 0x361f, v39
	v_fmac_f16_e32 v41, 0x3b64, v33
	v_sub_f16_e32 v33, v2, v34
	v_fmamk_f16 v34, v38, 0x361f, v40
	v_fmamk_f16 v35, v7, 0x39a8, v27
	v_fmac_f16_e32 v26, 0x3b64, v38
	v_fmamk_f16 v38, v6, 0x39a8, v4
	v_sub_f16_e32 v31, v0, v31
	v_sub_f16_e32 v24, v10, v24
	v_fmac_f16_e32 v35, 0x39a8, v6
	v_fmamk_f16 v6, v9, 0x3b64, v23
	v_fmac_f16_e32 v38, 0xb9a8, v7
	v_fmamk_f16 v7, v36, 0x3b64, v30
	v_add_f16_e32 v25, v1, v25
	v_fmac_f16_e32 v34, 0xbb64, v28
	v_fma_f16 v0, v0, 2.0, -v31
	v_fma_f16 v10, v10, 2.0, -v24
	;; [unrolled: 1-line block ×6, first 2 shown]
	v_fmac_f16_e32 v6, 0x361f, v36
	v_fmac_f16_e32 v7, 0xb61f, v9
	v_fma_f16 v3, v3, 2.0, -v29
	v_fma_f16 v1, v1, 2.0, -v25
	;; [unrolled: 1-line block ×7, first 2 shown]
	v_pack_b32_f16 v0, v0, v10
	v_pack_b32_f16 v9, v14, v13
	;; [unrolled: 1-line block ×3, first 2 shown]
	v_fma_f16 v11, v23, 2.0, -v6
	v_fma_f16 v12, v30, 2.0, -v7
	v_pack_b32_f16 v3, v3, v15
	v_pack_b32_f16 v1, v1, v2
	;; [unrolled: 1-line block ×3, first 2 shown]
	ds_write2_b32 v70, v0, v9 offset1:125
	ds_write2_b32 v16, v3, v10 offset0:122 offset1:247
	ds_write2_b32 v17, v1, v2 offset0:116 offset1:241
	v_pack_b32_f16 v0, v27, v4
	v_pack_b32_f16 v1, v11, v12
	;; [unrolled: 1-line block ×10, first 2 shown]
	ds_write2_b32 v18, v0, v1 offset0:110 offset1:235
	ds_write2_b32 v19, v2, v3 offset0:104 offset1:229
	;; [unrolled: 1-line block ×5, first 2 shown]
	s_waitcnt lgkmcnt(0)
	s_barrier
	buffer_gl0_inv
	ds_read2_b32 v[4:5], v70 offset1:125
	s_waitcnt lgkmcnt(0)
	v_lshrrev_b32_e32 v2, 16, v4
	v_mul_f16_sdwa v3, v86, v4 dst_sel:DWORD dst_unused:UNUSED_PAD src0_sel:WORD_1 src1_sel:DWORD
	v_mul_f16_sdwa v0, v86, v2 dst_sel:DWORD dst_unused:UNUSED_PAD src0_sel:WORD_1 src1_sel:DWORD
	v_fma_f16 v2, v86, v2, -v3
	v_fmac_f16_e32 v0, v86, v4
	v_cvt_f32_f16_e32 v2, v2
	v_cvt_f32_f16_e32 v0, v0
	v_cvt_f64_f32_e32 v[2:3], v2
	v_cvt_f64_f32_e32 v[0:1], v0
	v_mul_f64 v[8:9], v[2:3], s[4:5]
	v_mul_f64 v[6:7], v[0:1], s[4:5]
	v_add_nc_u32_e32 v0, 0x300, v70
	ds_read2_b32 v[0:1], v0 offset0:58 offset1:208
	v_lshrrev_b32_e32 v10, 8, v9
	v_bfe_u32 v12, v9, 20, 11
	v_and_or_b32 v2, 0x1ff, v7, v6
	v_lshrrev_b32_e32 v3, 8, v7
	v_bfe_u32 v4, v7, 20, 11
	s_waitcnt lgkmcnt(0)
	v_lshrrev_b32_e32 v13, 16, v1
	v_cmp_ne_u32_e64 s0, 0, v2
	v_cndmask_b32_e64 v2, 0, 1, s0
	v_and_or_b32 v6, 0xffe, v3, v2
	v_sub_nc_u32_e32 v2, 0x3f1, v4
	v_and_or_b32 v3, 0x1ff, v9, v8
	v_lshrrev_b32_e32 v9, 16, v9
	v_or_b32_e32 v8, 0x1000, v6
	v_med3_i32 v2, v2, 0, 13
	v_cmp_ne_u32_e64 s0, 0, v3
	v_lshrrev_b32_e32 v11, v2, v8
	v_cndmask_b32_e64 v3, 0, 1, s0
	v_lshlrev_b32_e32 v2, v2, v11
	v_and_or_b32 v14, 0xffe, v10, v3
	v_sub_nc_u32_e32 v3, 0x3f1, v12
	v_mul_f16_sdwa v10, v85, v13 dst_sel:DWORD dst_unused:UNUSED_PAD src0_sel:WORD_1 src1_sel:DWORD
	v_cmp_ne_u32_e64 s0, v2, v8
	v_or_b32_e32 v15, 0x1000, v14
	v_med3_i32 v3, v3, 0, 13
	v_add_nc_u32_e32 v8, 0xfffffc10, v4
	v_fmac_f16_e32 v10, v85, v1
	v_cndmask_b32_e64 v2, 0, 1, s0
	v_mul_f16_sdwa v1, v85, v1 dst_sel:DWORD dst_unused:UNUSED_PAD src0_sel:WORD_1 src1_sel:DWORD
	v_lshrrev_b32_e32 v16, v3, v15
	v_lshl_or_b32 v17, v8, 12, v6
	v_cmp_gt_i32_e64 s0, 1, v8
	v_or_b32_e32 v4, v11, v2
	v_cvt_f32_f16_e32 v2, v10
	v_lshlrev_b32_e32 v18, v3, v16
	v_mad_u64_u32 v[10:11], null, s10, v55, 0
	v_cndmask_b32_e64 v17, v17, v4, s0
	v_cvt_f64_f32_e32 v[2:3], v2
	v_cmp_ne_u32_e64 s0, v18, v15
	v_add_nc_u32_e32 v18, 0xfffffc10, v12
	v_fma_f16 v1, v85, v13, -v1
	v_and_b32_e32 v19, 7, v17
	v_mov_b32_e32 v4, v11
	v_cndmask_b32_e64 v15, 0, 1, s0
	v_cmp_gt_i32_e64 s0, 1, v18
	v_cmp_gt_i32_e64 s2, 31, v8
	v_cmp_eq_u32_e64 s1, 3, v19
	v_mad_u64_u32 v[11:12], null, s11, v55, v[4:5]
	v_or_b32_e32 v15, v16, v15
	v_lshl_or_b32 v16, v18, 12, v14
	v_lshrrev_b32_e32 v4, 2, v17
	v_cndmask_b32_e64 v12, v16, v15, s0
	v_cmp_lt_i32_e64 s0, 5, v19
	v_cvt_f32_f16_e32 v15, v1
	v_mul_f64 v[1:2], v[2:3], s[4:5]
	v_and_b32_e32 v13, 7, v12
	s_or_b32 s0, s1, s0
	v_lshrrev_b32_e32 v12, 2, v12
	v_add_co_ci_u32_e64 v16, s0, 0, v4, s0
	v_cmp_ne_u32_e64 s0, 0, v6
	v_cmp_eq_u32_e64 s1, 3, v13
	v_cvt_f64_f32_e32 v[3:4], v15
	v_cndmask_b32_e64 v6, 0, 1, s0
	v_cmp_lt_i32_e64 s0, 5, v13
	v_cndmask_b32_e64 v13, 0x7c00, v16, s2
	v_lshrrev_b32_e32 v16, 16, v7
	v_lshl_or_b32 v6, v6, 9, 0x7c00
	s_or_b32 s0, s1, s0
	v_add_co_ci_u32_e64 v12, s0, 0, v12, s0
	v_cmp_ne_u32_e64 s0, 0, v14
	v_and_or_b32 v1, 0x1ff, v2, v1
	v_lshrrev_b32_e32 v19, 8, v2
	v_bfe_u32 v20, v2, 20, 11
	v_cndmask_b32_e64 v14, 0, 1, s0
	v_cmp_eq_u32_e64 s0, 0x40f, v8
	v_lshl_or_b32 v14, v14, 9, 0x7c00
	v_cndmask_b32_e64 v15, v13, v6, s0
	v_cmp_gt_i32_e64 s0, 31, v18
	v_mad_u64_u32 v[6:7], null, s8, v83, 0
	v_cndmask_b32_e64 v8, 0x7c00, v12, s0
	v_mul_f64 v[12:13], v[3:4], s[4:5]
	v_add_nc_u32_e32 v3, 0xc00, v70
	v_cmp_ne_u32_e64 s0, 0, v1
	v_mov_b32_e32 v1, v7
	ds_read2_b32 v[3:4], v3 offset0:32 offset1:157
	v_cndmask_b32_e64 v17, 0, 1, s0
	v_cmp_eq_u32_e64 s0, 0x40f, v18
	v_sub_nc_u32_e32 v18, 0x3f1, v20
	v_and_or_b32 v17, 0xffe, v19, v17
	v_cndmask_b32_e64 v14, v8, v14, s0
	v_mad_u64_u32 v[7:8], null, s9, v83, v[1:2]
	v_and_or_b32 v1, 0x8000, v16, v15
	v_or_b32_e32 v15, 0x1000, v17
	v_med3_i32 v16, v18, 0, 13
	v_and_or_b32 v8, 0x8000, v9, v14
	v_and_b32_e32 v1, 0xffff, v1
	v_and_or_b32 v12, 0x1ff, v13, v12
	v_lshrrev_b32_e32 v14, v16, v15
	v_bfe_u32 v19, v13, 20, 11
	v_lshlrev_b64 v[6:7], 2, v[6:7]
	v_lshl_or_b32 v1, v8, 16, v1
	s_waitcnt lgkmcnt(0)
	v_lshrrev_b32_e32 v18, 16, v3
	v_lshlrev_b64 v[8:9], 2, v[10:11]
	v_lshlrev_b32_e32 v10, v16, v14
	v_cmp_ne_u32_e64 s0, 0, v12
	v_lshrrev_b32_e32 v16, 8, v13
	v_mul_f16_sdwa v12, v84, v18 dst_sel:DWORD dst_unused:UNUSED_PAD src0_sel:WORD_1 src1_sel:DWORD
	v_lshrrev_b32_e32 v13, 16, v13
	v_cndmask_b32_e64 v11, 0, 1, s0
	v_cmp_ne_u32_e64 s0, v10, v15
	v_fmac_f16_e32 v12, v84, v3
	v_add_nc_u32_e32 v15, 0xfffffc10, v20
	v_mul_f16_sdwa v3, v84, v3 dst_sel:DWORD dst_unused:UNUSED_PAD src0_sel:WORD_1 src1_sel:DWORD
	v_and_or_b32 v16, 0xffe, v16, v11
	v_cndmask_b32_e64 v10, 0, 1, s0
	v_sub_nc_u32_e32 v11, 0x3f1, v19
	v_cmp_gt_i32_e64 s0, 1, v15
	v_fma_f16 v3, v84, v18, -v3
	v_or_b32_e32 v20, 0x1000, v16
	v_or_b32_e32 v14, v14, v10
	v_cvt_f32_f16_e32 v10, v12
	v_med3_i32 v21, v11, 0, 13
	v_lshl_or_b32 v12, v15, 12, v17
	v_cvt_f32_f16_e32 v3, v3
	v_add_nc_u32_e32 v19, 0xfffffc10, v19
	v_cvt_f64_f32_e32 v[10:11], v10
	v_cndmask_b32_e64 v12, v12, v14, s0
	v_add_co_u32 v8, s0, s6, v8
	v_lshrrev_b32_e32 v14, v21, v20
	v_add_co_ci_u32_e64 v9, s0, s7, v9, s0
	v_and_b32_e32 v22, 7, v12
	v_add_co_u32 v6, s0, v8, v6
	v_lshlrev_b32_e32 v21, v21, v14
	v_add_co_ci_u32_e64 v7, s0, v9, v7, s0
	v_cmp_lt_i32_e64 s0, 5, v22
	v_cmp_eq_u32_e64 s1, 3, v22
	v_lshrrev_b32_e32 v12, 2, v12
	v_cmp_ne_u32_e64 s2, v21, v20
	global_store_dword v[6:7], v1, off
	v_add_nc_u32_e32 v1, 0x1000, v70
	s_or_b32 s0, s1, s0
	v_mul_f64 v[8:9], v[10:11], s[4:5]
	v_cvt_f64_f32_e32 v[10:11], v3
	v_add_co_ci_u32_e64 v3, s0, 0, v12, s0
	v_cndmask_b32_e64 v18, 0, 1, s2
	v_cmp_ne_u32_e64 s0, 0, v17
	v_or_b32_e32 v14, v14, v18
	v_lshl_or_b32 v18, v19, 12, v16
	v_cndmask_b32_e64 v12, 0, 1, s0
	v_cmp_gt_i32_e64 s0, 1, v19
	v_lshl_or_b32 v12, v12, 9, 0x7c00
	v_cndmask_b32_e64 v14, v18, v14, s0
	v_cmp_gt_i32_e64 s0, 31, v15
	v_and_b32_e32 v17, 7, v14
	v_cndmask_b32_e64 v3, 0x7c00, v3, s0
	v_cmp_eq_u32_e64 s0, 0x40f, v15
	v_and_or_b32 v8, 0x1ff, v9, v8
	v_mul_f64 v[10:11], v[10:11], s[4:5]
	v_cmp_eq_u32_e64 s1, 3, v17
	v_lshrrev_b32_e32 v14, 2, v14
	v_cndmask_b32_e64 v3, v3, v12, s0
	v_cmp_lt_i32_e64 s0, 5, v17
	v_lshrrev_b32_e32 v12, 16, v2
	ds_read2_b32 v[1:2], v1 offset0:26 offset1:176
	v_cmp_ne_u32_e64 s2, 0, v8
	v_lshrrev_b32_e32 v15, 8, v9
	s_or_b32 s0, s1, s0
	v_bfe_u32 v17, v9, 20, 11
	v_add_co_ci_u32_e64 v14, s0, 0, v14, s0
	v_cndmask_b32_e64 v8, 0, 1, s2
	v_cmp_ne_u32_e64 s0, 0, v16
	v_and_or_b32 v3, 0x8000, v12, v3
	s_mul_i32 s1, s9, 0x190
	s_mul_i32 s2, s8, 0x190
	v_and_or_b32 v8, 0xffe, v15, v8
	v_cndmask_b32_e64 v16, 0, 1, s0
	v_sub_nc_u32_e32 v15, 0x3f1, v17
	v_cmp_gt_i32_e64 s0, 31, v19
	v_and_or_b32 v10, 0x1ff, v11, v10
	v_or_b32_e32 v18, 0x1000, v8
	v_lshl_or_b32 v16, v16, 9, 0x7c00
	v_med3_i32 v15, v15, 0, 13
	v_cndmask_b32_e64 v14, 0x7c00, v14, s0
	v_cmp_eq_u32_e64 s0, 0x40f, v19
	s_waitcnt lgkmcnt(0)
	v_lshrrev_b32_e32 v20, 16, v2
	v_add_nc_u32_e32 v17, 0xfffffc10, v17
	v_and_b32_e32 v3, 0xffff, v3
	v_cndmask_b32_e64 v14, v14, v16, s0
	v_lshrrev_b32_e32 v16, v15, v18
	v_mul_f16_sdwa v19, v82, v20 dst_sel:DWORD dst_unused:UNUSED_PAD src0_sel:WORD_1 src1_sel:DWORD
	v_cmp_ne_u32_e64 s0, 0, v10
	v_and_or_b32 v14, 0x8000, v13, v14
	v_lshlrev_b32_e32 v12, v15, v16
	v_fmac_f16_e32 v19, v82, v2
	v_cndmask_b32_e64 v10, 0, 1, s0
	v_lshrrev_b32_e32 v13, 8, v11
	v_bfe_u32 v15, v11, 20, 11
	v_cmp_ne_u32_e64 s0, v12, v18
	v_cvt_f32_f16_e32 v19, v19
	v_mul_f16_sdwa v2, v82, v2 dst_sel:DWORD dst_unused:UNUSED_PAD src0_sel:WORD_1 src1_sel:DWORD
	v_and_or_b32 v10, 0xffe, v13, v10
	v_sub_nc_u32_e32 v21, 0x3f1, v15
	v_cndmask_b32_e64 v18, 0, 1, s0
	v_cvt_f64_f32_e32 v[12:13], v19
	v_cmp_gt_i32_e64 s0, 1, v17
	v_or_b32_e32 v19, 0x1000, v10
	v_med3_i32 v21, v21, 0, 13
	v_or_b32_e32 v16, v16, v18
	v_lshl_or_b32 v18, v17, 12, v8
	v_fma_f16 v2, v82, v20, -v2
	v_lshl_or_b32 v23, v14, 16, v3
	v_lshrrev_b32_e32 v20, 16, v9
	v_lshrrev_b32_e32 v11, 16, v11
	v_cndmask_b32_e64 v16, v18, v16, s0
	v_lshrrev_b32_e32 v18, v21, v19
	s_mul_hi_u32 s0, s8, 0x190
	v_cvt_f32_f16_e32 v2, v2
	s_add_i32 s3, s0, s1
	v_and_b32_e32 v22, 7, v16
	v_lshlrev_b32_e32 v21, v21, v18
	v_lshrrev_b32_e32 v16, 2, v16
	s_lshl_b64 s[6:7], s[2:3], 2
	v_cmp_lt_i32_e64 s0, 5, v22
	v_cmp_ne_u32_e64 s1, v21, v19
	v_add_nc_u32_e32 v19, 0xfffffc10, v15
	v_mul_f64 v[12:13], v[12:13], s[4:5]
	v_cvt_f64_f32_e32 v[14:15], v2
	v_cndmask_b32_e64 v3, 0, 1, s1
	v_cmp_eq_u32_e64 s1, 3, v22
	v_or_b32_e32 v3, v18, v3
	s_or_b32 s0, s1, s0
	v_lshl_or_b32 v18, v19, 12, v10
	v_add_co_ci_u32_e64 v2, s0, 0, v16, s0
	v_cmp_ne_u32_e64 s0, 0, v8
	v_cndmask_b32_e64 v8, 0, 1, s0
	v_cmp_gt_i32_e64 s0, 1, v19
	v_and_or_b32 v12, 0x1ff, v13, v12
	v_cndmask_b32_e64 v16, v18, v3, s0
	v_cmp_gt_i32_e64 s0, 31, v17
	v_lshl_or_b32 v3, v8, 9, 0x7c00
	v_add_nc_u32_e32 v18, 0x1800, v70
	v_cmp_ne_u32_e64 s2, 0, v12
	v_and_b32_e32 v8, 7, v16
	v_cndmask_b32_e64 v2, 0x7c00, v2, s0
	v_cmp_eq_u32_e64 s0, 0x40f, v17
	v_lshrrev_b32_e32 v16, 2, v16
	v_cndmask_b32_e64 v12, 0, 1, s2
	v_cmp_eq_u32_e64 s1, 3, v8
	v_cndmask_b32_e64 v17, v2, v3, s0
	ds_read2_b32 v[2:3], v18 offset0:64 offset1:189
	v_cmp_lt_i32_e64 s0, 5, v8
	v_mul_f64 v[8:9], v[14:15], s[4:5]
	v_lshrrev_b32_e32 v14, 8, v13
	v_bfe_u32 v15, v13, 20, 11
	v_and_or_b32 v17, 0x8000, v20, v17
	s_or_b32 s0, s1, s0
	v_add_co_ci_u32_e64 v16, s0, 0, v16, s0
	v_cmp_ne_u32_e64 s0, 0, v10
	v_and_or_b32 v12, 0xffe, v14, v12
	v_sub_nc_u32_e32 v14, 0x3f1, v15
	v_add_nc_u32_e32 v22, 0xfffffc10, v15
	v_and_b32_e32 v15, 0xffff, v17
	v_cndmask_b32_e64 v10, 0, 1, s0
	v_cmp_gt_i32_e64 s0, 31, v19
	v_or_b32_e32 v18, 0x1000, v12
	v_med3_i32 v14, v14, 0, 13
	v_lshl_or_b32 v10, v10, 9, 0x7c00
	v_cndmask_b32_e64 v16, 0x7c00, v16, s0
	s_waitcnt lgkmcnt(0)
	v_lshrrev_b32_e32 v21, 16, v2
	v_cmp_eq_u32_e64 s0, 0x40f, v19
	v_lshrrev_b32_e32 v19, v14, v18
	v_and_or_b32 v8, 0x1ff, v9, v8
	v_cndmask_b32_e64 v10, v16, v10, s0
	v_mul_f16_sdwa v16, v81, v21 dst_sel:DWORD dst_unused:UNUSED_PAD src0_sel:WORD_1 src1_sel:DWORD
	v_cmp_ne_u32_e64 s0, 0, v8
	v_and_or_b32 v20, 0x8000, v11, v10
	v_fmac_f16_e32 v16, v81, v2
	v_lshlrev_b32_e32 v10, v14, v19
	v_cndmask_b32_e64 v8, 0, 1, s0
	v_lshrrev_b32_e32 v14, 8, v9
	v_mul_f16_sdwa v2, v81, v2 dst_sel:DWORD dst_unused:UNUSED_PAD src0_sel:WORD_1 src1_sel:DWORD
	v_cvt_f32_f16_e32 v11, v16
	v_bfe_u32 v16, v9, 20, 11
	v_cmp_ne_u32_e64 s0, v10, v18
	v_and_or_b32 v8, 0xffe, v14, v8
	v_lshl_or_b32 v20, v20, 16, v15
	v_cvt_f64_f32_e32 v[10:11], v11
	v_sub_nc_u32_e32 v14, 0x3f1, v16
	v_cndmask_b32_e64 v18, 0, 1, s0
	v_add_co_u32 v6, s0, v6, s6
	v_add_co_ci_u32_e64 v7, s0, s7, v7, s0
	v_or_b32_e32 v17, v19, v18
	v_lshl_or_b32 v18, v22, 12, v12
	v_or_b32_e32 v19, 0x1000, v8
	v_med3_i32 v24, v14, 0, 13
	v_cmp_gt_i32_e64 s0, 1, v22
	v_fma_f16 v2, v81, v21, -v2
	v_add_nc_u32_e32 v16, 0xfffffc10, v16
	v_lshrrev_b32_e32 v9, 16, v9
	v_cndmask_b32_e64 v17, v18, v17, s0
	v_lshrrev_b32_e32 v18, v24, v19
	v_add_co_u32 v14, s0, v6, s6
	v_add_co_ci_u32_e64 v15, s0, s7, v7, s0
	v_lshlrev_b32_e32 v24, v24, v18
	v_and_b32_e32 v25, 7, v17
	v_mul_f64 v[10:11], v[10:11], s[4:5]
	global_store_dword v[6:7], v23, off
	global_store_dword v[14:15], v20, off
	v_cvt_f32_f16_e32 v2, v2
	v_cmp_ne_u32_e64 s1, v24, v19
	v_cmp_lt_i32_e64 s0, 5, v25
	v_lshrrev_b32_e32 v17, 2, v17
	v_lshl_or_b32 v19, v16, 12, v8
	v_cndmask_b32_e64 v6, 0, 1, s1
	v_cmp_eq_u32_e64 s1, 3, v25
	v_or_b32_e32 v18, v18, v6
	s_or_b32 s0, s1, s0
	v_cvt_f64_f32_e32 v[6:7], v2
	v_add_co_ci_u32_e64 v2, s0, 0, v17, s0
	v_cmp_ne_u32_e64 s0, 0, v12
	v_and_or_b32 v10, 0x1ff, v11, v10
	v_cndmask_b32_e64 v12, 0, 1, s0
	v_cmp_gt_i32_e64 s0, 1, v16
	v_bfe_u32 v20, v11, 20, 11
	v_lshl_or_b32 v12, v12, 9, 0x7c00
	v_cndmask_b32_e64 v17, v19, v18, s0
	v_cmp_gt_i32_e64 s0, 31, v22
	v_lshrrev_b32_e32 v19, 8, v11
	v_lshrrev_b32_e32 v11, 16, v11
	v_and_b32_e32 v18, 7, v17
	v_cndmask_b32_e64 v2, 0x7c00, v2, s0
	v_cmp_ne_u32_e64 s0, 0, v10
	v_mul_f64 v[6:7], v[6:7], s[4:5]
	v_lshrrev_b32_e32 v17, 2, v17
	v_cmp_eq_u32_e64 s1, 3, v18
	v_cndmask_b32_e64 v10, 0, 1, s0
	v_cmp_eq_u32_e64 s0, 0x40f, v22
	v_and_or_b32 v10, 0xffe, v19, v10
	v_cndmask_b32_e64 v2, v2, v12, s0
	v_cmp_lt_i32_e64 s0, 5, v18
	v_lshrrev_b32_e32 v12, 16, v13
	v_sub_nc_u32_e32 v13, 0x3f1, v20
	v_lshrrev_b32_e32 v19, 16, v5
	v_or_b32_e32 v18, 0x1000, v10
	s_or_b32 s0, s1, s0
	v_and_or_b32 v2, 0x8000, v12, v2
	v_add_co_ci_u32_e64 v17, s0, 0, v17, s0
	v_med3_i32 v13, v13, 0, 13
	v_cmp_ne_u32_e64 s0, 0, v8
	v_mul_f16_sdwa v21, v80, v19 dst_sel:DWORD dst_unused:UNUSED_PAD src0_sel:WORD_1 src1_sel:DWORD
	v_and_or_b32 v6, 0x1ff, v7, v6
	v_and_b32_e32 v2, 0xffff, v2
	v_lshrrev_b32_e32 v22, v13, v18
	v_cndmask_b32_e64 v8, 0, 1, s0
	v_cmp_gt_i32_e64 s0, 31, v16
	v_fmac_f16_e32 v21, v80, v5
	v_mul_f16_sdwa v5, v80, v5 dst_sel:DWORD dst_unused:UNUSED_PAD src0_sel:WORD_1 src1_sel:DWORD
	v_lshlrev_b32_e32 v23, v13, v22
	v_lshl_or_b32 v8, v8, 9, 0x7c00
	v_cndmask_b32_e64 v17, 0x7c00, v17, s0
	v_cmp_eq_u32_e64 s0, 0x40f, v16
	v_cvt_f32_f16_e32 v21, v21
	v_fma_f16 v5, v80, v19, -v5
	v_cndmask_b32_e64 v8, v17, v8, s0
	v_cmp_ne_u32_e64 s0, v23, v18
	v_cvt_f64_f32_e32 v[12:13], v21
	v_add_nc_u32_e32 v17, 0xfffffc10, v20
	v_lshrrev_b32_e32 v18, 8, v7
	v_bfe_u32 v20, v7, 20, 11
	v_cndmask_b32_e64 v16, 0, 1, s0
	v_cmp_ne_u32_e64 s0, 0, v6
	v_and_or_b32 v8, 0x8000, v9, v8
	v_cvt_f32_f16_e32 v5, v5
	v_add_nc_u32_e32 v19, 0xfffffc10, v20
	v_or_b32_e32 v9, v22, v16
	v_cndmask_b32_e64 v6, 0, 1, s0
	v_lshl_or_b32 v16, v17, 12, v10
	v_cmp_gt_i32_e64 s0, 1, v17
	v_lshl_or_b32 v2, v8, 16, v2
	v_lshrrev_b32_e32 v7, 16, v7
	v_and_or_b32 v18, 0xffe, v18, v6
	v_sub_nc_u32_e32 v6, 0x3f1, v20
	v_cndmask_b32_e64 v16, v16, v9, s0
	v_add_nc_u32_e32 v20, 0x800, v70
	v_or_b32_e32 v21, 0x1000, v18
	v_med3_i32 v6, v6, 0, 13
	v_mul_f64 v[8:9], v[12:13], s[4:5]
	v_and_b32_e32 v22, 7, v16
	v_add_co_u32 v12, s0, v14, s6
	v_lshrrev_b32_e32 v23, v6, v21
	v_add_co_ci_u32_e64 v13, s0, s7, v15, s0
	v_cmp_lt_i32_e64 s0, 5, v22
	v_cmp_eq_u32_e64 s1, 3, v22
	v_lshlrev_b32_e32 v6, v6, v23
	v_lshrrev_b32_e32 v16, 2, v16
	v_cvt_f64_f32_e32 v[14:15], v5
	global_store_dword v[12:13], v2, off
	s_or_b32 s0, s1, s0
	v_cmp_ne_u32_e64 s2, v6, v21
	v_add_co_ci_u32_e64 v16, s0, 0, v16, s0
	v_cmp_ne_u32_e64 s0, 0, v10
	v_cndmask_b32_e64 v6, 0, 1, s2
	v_and_or_b32 v8, 0x1ff, v9, v8
	v_cndmask_b32_e64 v10, 0, 1, s0
	v_or_b32_e32 v5, v23, v6
	v_lshl_or_b32 v6, v19, 12, v18
	v_cmp_gt_i32_e64 s0, 1, v19
	v_bfe_u32 v22, v9, 20, 11
	v_lshl_or_b32 v10, v10, 9, 0x7c00
	v_cndmask_b32_e64 v21, v6, v5, s0
	v_cmp_ne_u32_e64 s0, 0, v8
	ds_read2_b32 v[5:6], v20 offset0:13 offset1:138
	v_lshrrev_b32_e32 v20, 8, v9
	v_mul_f64 v[14:15], v[14:15], s[4:5]
	v_and_b32_e32 v23, 7, v21
	v_cndmask_b32_e64 v8, 0, 1, s0
	v_cmp_gt_i32_e64 s0, 31, v17
	v_lshrrev_b32_e32 v9, 16, v9
	v_cmp_eq_u32_e64 s1, 3, v23
	v_and_or_b32 v20, 0xffe, v20, v8
	v_cndmask_b32_e64 v16, 0x7c00, v16, s0
	v_sub_nc_u32_e32 v8, 0x3f1, v22
	v_cmp_eq_u32_e64 s0, 0x40f, v17
	v_lshrrev_b32_e32 v17, 2, v21
	v_med3_i32 v8, v8, 0, 13
	v_cndmask_b32_e64 v10, v16, v10, s0
	v_or_b32_e32 v16, 0x1000, v20
	v_cmp_lt_i32_e64 s0, 5, v23
	s_waitcnt lgkmcnt(0)
	v_lshrrev_b32_e32 v21, 16, v5
	v_and_or_b32 v25, 0x8000, v11, v10
	v_lshrrev_b32_e32 v23, v8, v16
	s_or_b32 s0, s1, s0
	v_mul_f16_sdwa v24, v79, v21 dst_sel:DWORD dst_unused:UNUSED_PAD src0_sel:WORD_1 src1_sel:DWORD
	v_add_co_ci_u32_e64 v17, s0, 0, v17, s0
	v_lshlrev_b32_e32 v8, v8, v23
	v_cmp_gt_i32_e64 s0, 31, v19
	v_fmac_f16_e32 v24, v79, v5
	v_and_or_b32 v14, 0x1ff, v15, v14
	v_mul_f16_sdwa v5, v79, v5 dst_sel:DWORD dst_unused:UNUSED_PAD src0_sel:WORD_1 src1_sel:DWORD
	v_cndmask_b32_e64 v17, 0x7c00, v17, s0
	v_cmp_ne_u32_e64 s0, v8, v16
	v_cvt_f32_f16_e32 v10, v24
	v_add_nc_u32_e32 v16, 0xfffffc10, v22
	v_bfe_u32 v24, v15, 20, 11
	v_fma_f16 v5, v79, v21, -v5
	v_cndmask_b32_e64 v8, 0, 1, s0
	v_cmp_ne_u32_e64 s0, 0, v18
	v_cvt_f64_f32_e32 v[10:11], v10
	v_lshl_or_b32 v22, v16, 12, v20
	v_cvt_f32_f16_e32 v5, v5
	v_or_b32_e32 v8, v23, v8
	v_cndmask_b32_e64 v18, 0, 1, s0
	v_cmp_ne_u32_e64 s0, 0, v14
	v_lshrrev_b32_e32 v23, 8, v15
	v_lshl_or_b32 v18, v18, 9, 0x7c00
	v_cndmask_b32_e64 v14, 0, 1, s0
	v_cmp_gt_i32_e64 s0, 1, v16
	v_and_or_b32 v14, 0xffe, v23, v14
	v_cndmask_b32_e64 v22, v22, v8, s0
	v_sub_nc_u32_e32 v8, 0x3f1, v24
	v_cmp_eq_u32_e64 s0, 0x40f, v19
	v_or_b32_e32 v19, 0x1000, v14
	v_med3_i32 v23, v8, 0, 13
	v_cndmask_b32_e64 v17, v17, v18, s0
	v_and_b32_e32 v18, 7, v22
	v_and_or_b32 v2, 0x8000, v7, v17
	v_and_b32_e32 v17, 0xffff, v25
	v_lshrrev_b32_e32 v25, v23, v19
	v_cmp_lt_i32_e64 s0, 5, v18
	v_cmp_eq_u32_e64 s1, 3, v18
	v_mul_f64 v[7:8], v[10:11], s[4:5]
	v_lshrrev_b32_e32 v10, 2, v22
	v_lshlrev_b32_e32 v11, v23, v25
	v_lshl_or_b32 v2, v2, 16, v17
	s_or_b32 s0, s1, s0
	v_add_nc_u32_e32 v17, 0xfffffc10, v24
	v_add_co_ci_u32_e64 v10, s0, 0, v10, s0
	v_cmp_ne_u32_e64 s0, v11, v19
	v_lshl_or_b32 v19, v17, 12, v14
	v_cndmask_b32_e64 v11, 0, 1, s0
	v_cmp_ne_u32_e64 s0, 0, v20
	v_or_b32_e32 v11, v25, v11
	v_cndmask_b32_e64 v18, 0, 1, s0
	v_cmp_gt_i32_e64 s0, 31, v16
	v_and_or_b32 v7, 0x1ff, v8, v7
	v_lshl_or_b32 v18, v18, 9, 0x7c00
	v_cndmask_b32_e64 v20, 0x7c00, v10, s0
	v_cmp_gt_i32_e64 s0, 1, v17
	v_cndmask_b32_e64 v19, v19, v11, s0
	v_add_co_u32 v12, s0, v12, s6
	v_add_co_ci_u32_e64 v13, s0, s7, v13, s0
	v_cmp_eq_u32_e64 s0, 0x40f, v16
	v_cvt_f64_f32_e32 v[10:11], v5
	v_and_b32_e32 v16, 7, v19
	global_store_dword v[12:13], v2, off
	v_cndmask_b32_e64 v5, v20, v18, s0
	v_cmp_ne_u32_e64 s0, 0, v7
	v_lshrrev_b32_e32 v18, 8, v8
	v_bfe_u32 v20, v8, 20, 11
	v_cmp_eq_u32_e64 s1, 3, v16
	v_and_or_b32 v5, 0x8000, v9, v5
	v_cndmask_b32_e64 v7, 0, 1, s0
	v_cmp_lt_i32_e64 s0, 5, v16
	v_lshrrev_b32_e32 v16, 2, v19
	v_lshrrev_b32_e32 v19, 16, v4
	v_and_b32_e32 v5, 0xffff, v5
	v_and_or_b32 v7, 0xffe, v18, v7
	v_sub_nc_u32_e32 v18, 0x3f1, v20
	s_or_b32 s0, s1, s0
	v_mul_f16_sdwa v22, v78, v19 dst_sel:DWORD dst_unused:UNUSED_PAD src0_sel:WORD_1 src1_sel:DWORD
	v_add_co_ci_u32_e64 v16, s0, 0, v16, s0
	v_or_b32_e32 v21, 0x1000, v7
	v_med3_i32 v18, v18, 0, 13
	v_cmp_ne_u32_e64 s0, 0, v14
	v_mul_f64 v[10:11], v[10:11], s[4:5]
	v_fmac_f16_e32 v22, v78, v4
	v_add_nc_u32_e32 v20, 0xfffffc10, v20
	v_lshrrev_b32_e32 v23, v18, v21
	v_cndmask_b32_e64 v14, 0, 1, s0
	v_cmp_gt_i32_e64 s0, 31, v17
	v_cvt_f32_f16_e32 v22, v22
	s_mul_i32 s1, s9, 0xfffffa3d
	v_lshlrev_b32_e32 v18, v18, v23
	v_lshl_or_b32 v14, v14, 9, 0x7c00
	v_cndmask_b32_e64 v16, 0x7c00, v16, s0
	v_cmp_eq_u32_e64 s0, 0x40f, v17
	v_lshrrev_b32_e32 v17, 16, v15
	v_mul_f16_sdwa v4, v78, v4 dst_sel:DWORD dst_unused:UNUSED_PAD src0_sel:WORD_1 src1_sel:DWORD
	v_cndmask_b32_e64 v16, v16, v14, s0
	v_cmp_ne_u32_e64 s0, v18, v21
	v_cvt_f64_f32_e32 v[14:15], v22
	v_fma_f16 v4, v78, v19, -v4
	v_and_or_b32 v16, 0x8000, v17, v16
	v_cndmask_b32_e64 v18, 0, 1, s0
	s_mul_hi_u32 s0, s8, 0xfffffa3d
	v_lshl_or_b32 v17, v20, 12, v7
	v_and_or_b32 v10, 0x1ff, v11, v10
	s_sub_i32 s2, s0, s8
	v_or_b32_e32 v9, v23, v18
	v_cmp_gt_i32_e64 s0, 1, v20
	v_bfe_u32 v18, v11, 20, 11
	s_add_i32 s3, s2, s1
	v_cvt_f32_f16_e32 v4, v4
	s_mul_i32 s2, s8, 0xfffffa3d
	v_cndmask_b32_e64 v17, v17, v9, s0
	v_cmp_ne_u32_e64 s0, 0, v10
	v_lshrrev_b32_e32 v10, 8, v11
	v_sub_nc_u32_e32 v23, 0x3f1, v18
	v_add_nc_u32_e32 v18, 0xfffffc10, v18
	v_and_b32_e32 v21, 7, v17
	v_cndmask_b32_e64 v9, 0, 1, s0
	v_lshrrev_b32_e32 v11, 16, v11
	s_lshl_b64 s[8:9], s[2:3], 2
	v_cmp_lt_i32_e64 s0, 5, v21
	v_and_or_b32 v22, 0xffe, v10, v9
	v_mul_f64 v[9:10], v[14:15], s[4:5]
	v_med3_i32 v14, v23, 0, 13
	v_cmp_eq_u32_e64 s1, 3, v21
	v_lshl_or_b32 v21, v16, 16, v5
	v_or_b32_e32 v24, 0x1000, v22
	v_lshrrev_b32_e32 v5, 2, v17
	s_or_b32 s0, s1, s0
	v_lshrrev_b32_e32 v16, v14, v24
	v_add_co_ci_u32_e64 v5, s0, 0, v5, s0
	v_cmp_gt_i32_e64 s0, 31, v20
	v_lshlrev_b32_e32 v17, v14, v16
	v_cvt_f64_f32_e32 v[14:15], v4
	v_cndmask_b32_e64 v19, 0x7c00, v5, s0
	v_cmp_ne_u32_e64 s0, v17, v24
	v_and_or_b32 v5, 0x1ff, v10, v9
	v_lshl_or_b32 v9, v18, 12, v22
	v_cndmask_b32_e64 v4, 0, 1, s0
	v_cmp_ne_u32_e64 s0, 0, v7
	v_bfe_u32 v17, v10, 20, 11
	v_or_b32_e32 v4, v16, v4
	v_cndmask_b32_e64 v7, 0, 1, s0
	v_cmp_ne_u32_e64 s0, 0, v5
	v_lshrrev_b32_e32 v16, 8, v10
	v_lshrrev_b32_e32 v10, 16, v10
	v_lshl_or_b32 v7, v7, 9, 0x7c00
	v_cndmask_b32_e64 v5, 0, 1, s0
	v_cmp_gt_i32_e64 s0, 1, v18
	v_mul_f64 v[14:15], v[14:15], s[4:5]
	v_and_or_b32 v23, 0xffe, v16, v5
	v_cndmask_b32_e64 v9, v9, v4, s0
	v_add_nc_u32_e32 v4, 0x1400, v70
	v_sub_nc_u32_e32 v16, 0x3f1, v17
	v_cmp_eq_u32_e64 s0, 0x40f, v20
	v_or_b32_e32 v25, 0x1000, v23
	v_and_b32_e32 v24, 7, v9
	ds_read2_b32 v[4:5], v4 offset0:45 offset1:170
	v_med3_i32 v16, v16, 0, 13
	v_cndmask_b32_e64 v19, v19, v7, s0
	v_lshrrev_b32_e32 v9, 2, v9
	v_cmp_lt_i32_e64 s0, 5, v24
	v_cmp_eq_u32_e64 s1, 3, v24
	v_lshrrev_b32_e32 v24, v16, v25
	v_lshrrev_b32_e32 v20, 16, v8
	v_add_co_u32 v7, s2, v12, s8
	s_or_b32 s0, s1, s0
	v_lshlrev_b32_e32 v16, v16, v24
	v_add_co_ci_u32_e64 v9, s0, 0, v9, s0
	v_and_or_b32 v20, 0x8000, v20, v19
	v_and_or_b32 v14, 0x1ff, v15, v14
	v_cmp_ne_u32_e64 s0, v16, v25
	v_add_nc_u32_e32 v25, 0xfffffc10, v17
	v_lshrrev_b32_e32 v26, 8, v15
	v_bfe_u32 v27, v15, 20, 11
	s_waitcnt lgkmcnt(0)
	v_lshrrev_b32_e32 v19, 16, v4
	v_cndmask_b32_e64 v16, 0, 1, s0
	v_cmp_ne_u32_e64 s0, 0, v22
	v_and_b32_e32 v20, 0xffff, v20
	v_add_co_ci_u32_e64 v8, s2, s9, v13, s2
	v_mul_f16_sdwa v17, v77, v19 dst_sel:DWORD dst_unused:UNUSED_PAD src0_sel:WORD_1 src1_sel:DWORD
	v_cndmask_b32_e64 v22, 0, 1, s0
	v_cmp_ne_u32_e64 s0, 0, v14
	v_or_b32_e32 v16, v24, v16
	v_lshl_or_b32 v24, v25, 12, v23
	v_fmac_f16_e32 v17, v77, v4
	v_lshl_or_b32 v22, v22, 9, 0x7c00
	v_cndmask_b32_e64 v14, 0, 1, s0
	v_cmp_gt_i32_e64 s0, 1, v25
	v_mul_f16_sdwa v4, v77, v4 dst_sel:DWORD dst_unused:UNUSED_PAD src0_sel:WORD_1 src1_sel:DWORD
	v_cvt_f32_f16_e32 v17, v17
	global_store_dword v[7:8], v21, off
	v_and_or_b32 v14, 0xffe, v26, v14
	v_cndmask_b32_e64 v24, v24, v16, s0
	v_cmp_gt_i32_e64 s0, 31, v18
	v_sub_nc_u32_e32 v26, 0x3f1, v27
	v_cvt_f64_f32_e32 v[16:17], v17
	v_or_b32_e32 v29, 0x1000, v14
	v_and_b32_e32 v28, 7, v24
	v_cndmask_b32_e64 v9, 0x7c00, v9, s0
	v_cmp_eq_u32_e64 s0, 0x40f, v18
	v_med3_i32 v26, v26, 0, 13
	v_fma_f16 v4, v77, v19, -v4
	v_cmp_eq_u32_e64 s1, 3, v28
	v_lshrrev_b32_e32 v15, 16, v15
	v_cndmask_b32_e64 v9, v9, v22, s0
	v_lshrrev_b32_e32 v22, v26, v29
	v_cmp_lt_i32_e64 s0, 5, v28
	v_cvt_f32_f16_e32 v4, v4
	v_and_or_b32 v9, 0x8000, v11, v9
	v_lshrrev_b32_e32 v11, 2, v24
	v_lshlrev_b32_e32 v18, v26, v22
	s_or_b32 s0, s1, s0
	v_add_nc_u32_e32 v26, 0xfffffc10, v27
	v_lshl_or_b32 v20, v9, 16, v20
	v_add_co_ci_u32_e64 v11, s0, 0, v11, s0
	v_cmp_ne_u32_e64 s0, v18, v29
	v_mul_f64 v[16:17], v[16:17], s[4:5]
	v_cvt_f64_f32_e32 v[18:19], v4
	v_cndmask_b32_e64 v24, 0, 1, s0
	v_cmp_ne_u32_e64 s0, 0, v23
	v_lshl_or_b32 v23, v26, 12, v14
	v_or_b32_e32 v22, v22, v24
	v_cndmask_b32_e64 v4, 0, 1, s0
	v_cmp_gt_i32_e64 s0, 31, v25
	v_mul_f16_sdwa v24, v76, v3 dst_sel:DWORD dst_unused:UNUSED_PAD src0_sel:WORD_1 src1_sel:DWORD
	v_lshl_or_b32 v4, v4, 9, 0x7c00
	v_cndmask_b32_e64 v11, 0x7c00, v11, s0
	v_cmp_gt_i32_e64 s0, 1, v26
	v_cndmask_b32_e64 v22, v23, v22, s0
	v_cmp_eq_u32_e64 s0, 0x40f, v25
	v_lshrrev_b32_e32 v12, 8, v17
	v_bfe_u32 v13, v17, 20, 11
	v_and_b32_e32 v2, 7, v22
	v_cndmask_b32_e64 v4, v11, v4, s0
	v_and_or_b32 v11, 0x1ff, v17, v16
	v_lshrrev_b32_e32 v17, 16, v17
	v_cmp_lt_i32_e64 s0, 5, v2
	v_and_or_b32 v4, 0x8000, v10, v4
	v_mul_f64 v[9:10], v[18:19], s[4:5]
	v_cmp_ne_u32_e64 s2, 0, v11
	v_cmp_eq_u32_e64 s1, 3, v2
	v_lshrrev_b32_e32 v2, 2, v22
	v_lshrrev_b32_e32 v18, 16, v3
	v_and_b32_e32 v4, 0xffff, v4
	v_cndmask_b32_e64 v11, 0, 1, s2
	s_or_b32 s0, s1, s0
	v_add_co_ci_u32_e64 v2, s0, 0, v2, s0
	v_and_or_b32 v16, 0xffe, v12, v11
	v_sub_nc_u32_e32 v11, 0x3f1, v13
	v_cmp_ne_u32_e64 s0, 0, v14
	v_mul_f16_sdwa v19, v76, v18 dst_sel:DWORD dst_unused:UNUSED_PAD src0_sel:WORD_1 src1_sel:DWORD
	v_fma_f16 v18, v76, v18, -v24
	v_or_b32_e32 v14, 0x1000, v16
	v_med3_i32 v11, v11, 0, 13
	v_cndmask_b32_e64 v12, 0, 1, s0
	v_cmp_gt_i32_e64 s0, 31, v26
	v_fmac_f16_e32 v19, v76, v3
	v_cvt_f32_f16_e32 v18, v18
	v_lshrrev_b32_e32 v21, v11, v14
	v_lshl_or_b32 v12, v12, 9, 0x7c00
	v_cndmask_b32_e64 v2, 0x7c00, v2, s0
	v_and_or_b32 v9, 0x1ff, v10, v9
	v_cmp_eq_u32_e64 s0, 0x40f, v26
	v_lshlrev_b32_e32 v22, v11, v21
	v_cvt_f32_f16_e32 v11, v19
	v_lshrrev_b32_e32 v19, 8, v10
	v_bfe_u32 v23, v10, 20, 11
	v_cndmask_b32_e64 v2, v2, v12, s0
	v_cmp_ne_u32_e64 s0, 0, v9
	v_cvt_f64_f32_e32 v[11:12], v11
	v_lshrrev_b32_e32 v10, 16, v10
	v_and_or_b32 v2, 0x8000, v15, v2
	v_cndmask_b32_e64 v9, 0, 1, s0
	v_cmp_ne_u32_e64 s0, v22, v14
	v_add_nc_u32_e32 v22, 0xfffffc10, v13
	v_sub_nc_u32_e32 v13, 0x3f1, v23
	v_lshl_or_b32 v4, v2, 16, v4
	v_and_or_b32 v9, 0xffe, v19, v9
	v_cndmask_b32_e64 v14, 0, 1, s0
	v_lshl_or_b32 v19, v22, 12, v16
	v_med3_i32 v13, v13, 0, 13
	v_cmp_gt_i32_e64 s0, 1, v22
	v_or_b32_e32 v14, v21, v14
	v_or_b32_e32 v21, 0x1000, v9
	v_cndmask_b32_e64 v14, v19, v14, s0
	v_lshrrev_b32_e32 v15, v13, v21
	v_add_co_u32 v7, s0, v7, s6
	v_add_co_ci_u32_e64 v8, s0, s7, v8, s0
	v_lshlrev_b32_e32 v13, v13, v15
	v_and_b32_e32 v19, 7, v14
	v_mul_f64 v[11:12], v[11:12], s[4:5]
	v_add_co_u32 v2, s0, v7, s6
	v_cmp_ne_u32_e64 s1, v13, v21
	v_add_co_ci_u32_e64 v3, s0, s7, v8, s0
	v_cmp_lt_i32_e64 s0, 5, v19
	v_add_nc_u32_e32 v21, 0xfffffc10, v23
	v_cndmask_b32_e64 v13, 0, 1, s1
	v_cmp_eq_u32_e64 s1, 3, v19
	v_lshrrev_b32_e32 v19, 2, v14
	global_store_dword v[7:8], v20, off
	global_store_dword v[2:3], v4, off
	v_lshl_or_b32 v23, v21, 12, v9
	v_or_b32_e32 v15, v15, v13
	s_or_b32 s0, s1, s0
	v_cvt_f64_f32_e32 v[13:14], v18
	v_add_co_ci_u32_e64 v18, s0, 0, v19, s0
	v_cmp_ne_u32_e64 s0, 0, v16
	v_and_or_b32 v11, 0x1ff, v12, v11
	v_cndmask_b32_e64 v16, 0, 1, s0
	v_cmp_gt_i32_e64 s0, 1, v21
	v_bfe_u32 v24, v12, 20, 11
	v_lshl_or_b32 v16, v16, 9, 0x7c00
	v_cndmask_b32_e64 v15, v23, v15, s0
	v_cmp_gt_i32_e64 s0, 31, v22
	v_lshrrev_b32_e32 v23, 8, v12
	v_lshrrev_b32_e32 v12, 16, v12
	v_and_b32_e32 v19, 7, v15
	v_cndmask_b32_e64 v18, 0x7c00, v18, s0
	v_cmp_ne_u32_e64 s0, 0, v11
	v_mul_f64 v[13:14], v[13:14], s[4:5]
	v_lshrrev_b32_e32 v15, 2, v15
	v_cmp_eq_u32_e64 s1, 3, v19
	v_cndmask_b32_e64 v11, 0, 1, s0
	v_cmp_eq_u32_e64 s0, 0x40f, v22
	v_lshrrev_b32_e32 v22, 16, v0
	v_and_or_b32 v11, 0xffe, v23, v11
	v_cndmask_b32_e64 v16, v18, v16, s0
	v_cmp_lt_i32_e64 s0, 5, v19
	v_sub_nc_u32_e32 v18, 0x3f1, v24
	v_mul_f16_sdwa v23, v75, v22 dst_sel:DWORD dst_unused:UNUSED_PAD src0_sel:WORD_1 src1_sel:DWORD
	v_or_b32_e32 v19, 0x1000, v11
	v_and_or_b32 v17, 0x8000, v17, v16
	s_or_b32 s0, s1, s0
	v_med3_i32 v18, v18, 0, 13
	v_add_co_ci_u32_e64 v15, s0, 0, v15, s0
	v_cmp_ne_u32_e64 s0, 0, v9
	v_fmac_f16_e32 v23, v75, v0
	v_lshrrev_b32_e32 v25, v18, v19
	v_and_or_b32 v13, 0x1ff, v14, v13
	v_mul_f16_sdwa v0, v75, v0 dst_sel:DWORD dst_unused:UNUSED_PAD src0_sel:WORD_1 src1_sel:DWORD
	v_cndmask_b32_e64 v9, 0, 1, s0
	v_cmp_gt_i32_e64 s0, 31, v21
	v_lshlrev_b32_e32 v16, v18, v25
	v_fma_f16 v0, v75, v22, -v0
	v_lshl_or_b32 v9, v9, 9, 0x7c00
	v_cndmask_b32_e64 v15, 0x7c00, v15, s0
	v_cmp_eq_u32_e64 s0, 0x40f, v21
	v_lshrrev_b32_e32 v21, 8, v14
	v_cvt_f32_f16_e32 v0, v0
	v_cndmask_b32_e64 v9, v15, v9, s0
	v_cmp_ne_u32_e64 s0, v16, v19
	v_cvt_f32_f16_e32 v15, v23
	v_add_nc_u32_e32 v19, 0xfffffc10, v24
	v_bfe_u32 v23, v14, 20, 11
	v_and_or_b32 v9, 0x8000, v10, v9
	v_cndmask_b32_e64 v18, 0, 1, s0
	v_cmp_ne_u32_e64 s0, 0, v13
	v_cvt_f64_f32_e32 v[15:16], v15
	v_lshl_or_b32 v24, v19, 12, v11
	v_and_b32_e32 v10, 0xffff, v17
	v_or_b32_e32 v18, v25, v18
	v_cndmask_b32_e64 v13, 0, 1, s0
	v_cmp_gt_i32_e64 s0, 1, v19
	v_lshrrev_b32_e32 v14, 16, v14
	v_lshl_or_b32 v4, v9, 16, v10
	v_and_or_b32 v13, 0xffe, v21, v13
	v_sub_nc_u32_e32 v21, 0x3f1, v23
	v_cndmask_b32_e64 v18, v24, v18, s0
	v_or_b32_e32 v17, 0x1000, v13
	v_med3_i32 v21, v21, 0, 13
	v_and_b32_e32 v24, 7, v18
	v_lshrrev_b32_e32 v10, 2, v18
	v_lshrrev_b32_e32 v9, v21, v17
	v_cmp_lt_i32_e64 s0, 5, v24
	v_cmp_eq_u32_e64 s1, 3, v24
	v_mul_f64 v[7:8], v[15:16], s[4:5]
	v_add_nc_u32_e32 v16, 0xfffffc10, v23
	v_lshlrev_b32_e32 v15, v21, v9
	s_or_b32 s0, s1, s0
	v_add_co_ci_u32_e64 v10, s0, 0, v10, s0
	v_cmp_ne_u32_e64 s0, v15, v17
	v_cndmask_b32_e64 v15, 0, 1, s0
	v_cmp_ne_u32_e64 s0, 0, v11
	v_or_b32_e32 v9, v9, v15
	v_cndmask_b32_e64 v11, 0, 1, s0
	v_cmp_gt_i32_e64 s0, 31, v19
	v_lshl_or_b32 v15, v16, 12, v13
	v_bfe_u32 v18, v8, 20, 11
	v_lshl_or_b32 v11, v11, 9, 0x7c00
	v_cndmask_b32_e64 v17, 0x7c00, v10, s0
	v_cmp_gt_i32_e64 s0, 1, v16
	v_cndmask_b32_e64 v15, v15, v9, s0
	v_cvt_f64_f32_e32 v[9:10], v0
	v_add_co_u32 v2, s0, v2, s6
	v_add_co_ci_u32_e64 v3, s0, s7, v3, s0
	v_and_or_b32 v0, 0x1ff, v8, v7
	v_cmp_eq_u32_e64 s0, 0x40f, v19
	v_lshrrev_b32_e32 v19, 16, v6
	global_store_dword v[2:3], v4, off
	v_cndmask_b32_e64 v7, v17, v11, s0
	v_cmp_ne_u32_e64 s0, 0, v0
	v_and_b32_e32 v11, 7, v15
	v_lshrrev_b32_e32 v17, 8, v8
	v_lshrrev_b32_e32 v15, 2, v15
	v_and_or_b32 v7, 0x8000, v12, v7
	v_cndmask_b32_e64 v0, 0, 1, s0
	v_cmp_lt_i32_e64 s0, 5, v11
	v_cmp_eq_u32_e64 s1, 3, v11
	v_sub_nc_u32_e32 v11, 0x3f1, v18
	v_and_b32_e32 v7, 0xffff, v7
	v_mul_f64 v[9:10], v[9:10], s[4:5]
	v_and_or_b32 v0, 0xffe, v17, v0
	v_mul_f16_sdwa v17, v74, v19 dst_sel:DWORD dst_unused:UNUSED_PAD src0_sel:WORD_1 src1_sel:DWORD
	s_or_b32 s0, s1, s0
	v_med3_i32 v11, v11, 0, 13
	v_add_co_ci_u32_e64 v15, s0, 0, v15, s0
	v_or_b32_e32 v20, 0x1000, v0
	v_cmp_ne_u32_e64 s0, 0, v13
	v_fmac_f16_e32 v17, v74, v6
	v_mul_f16_sdwa v6, v74, v6 dst_sel:DWORD dst_unused:UNUSED_PAD src0_sel:WORD_1 src1_sel:DWORD
	v_lshrrev_b32_e32 v21, v11, v20
	v_cndmask_b32_e64 v13, 0, 1, s0
	v_cmp_gt_i32_e64 s0, 31, v16
	v_cvt_f32_f16_e32 v17, v17
	v_fma_f16 v6, v74, v19, -v6
	v_lshlrev_b32_e32 v22, v11, v21
	v_lshl_or_b32 v13, v13, 9, 0x7c00
	v_cndmask_b32_e64 v15, 0x7c00, v15, s0
	v_cmp_eq_u32_e64 s0, 0x40f, v16
	v_cvt_f64_f32_e32 v[11:12], v17
	v_and_or_b32 v9, 0x1ff, v10, v9
	v_add_nc_u32_e32 v16, 0xfffffc10, v18
	v_lshrrev_b32_e32 v17, 8, v10
	v_cndmask_b32_e64 v13, v15, v13, s0
	v_cmp_ne_u32_e64 s0, v22, v20
	v_bfe_u32 v18, v10, 20, 11
	v_cvt_f32_f16_e32 v6, v6
	v_lshrrev_b32_e32 v10, 16, v10
	v_and_or_b32 v13, 0x8000, v14, v13
	v_cndmask_b32_e64 v15, 0, 1, s0
	v_cmp_ne_u32_e64 s0, 0, v9
	v_lshl_or_b32 v7, v13, 16, v7
	v_or_b32_e32 v14, v21, v15
	v_cndmask_b32_e64 v9, 0, 1, s0
	v_lshl_or_b32 v15, v16, 12, v0
	v_cmp_gt_i32_e64 s0, 1, v16
	v_and_or_b32 v4, 0xffe, v17, v9
	v_sub_nc_u32_e32 v9, 0x3f1, v18
	v_cndmask_b32_e64 v14, v15, v14, s0
	v_mul_f64 v[11:12], v[11:12], s[4:5]
	v_add_co_u32 v2, s0, v2, s6
	v_or_b32_e32 v15, 0x1000, v4
	v_med3_i32 v9, v9, 0, 13
	v_and_b32_e32 v13, 7, v14
	v_add_co_ci_u32_e64 v3, s0, s7, v3, s0
	v_lshrrev_b32_e32 v17, v9, v15
	v_cmp_lt_i32_e64 s0, 5, v13
	v_cmp_eq_u32_e64 s1, 3, v13
	global_store_dword v[2:3], v7, off
	v_lshrrev_b32_e32 v7, 2, v14
	v_lshlrev_b32_e32 v9, v9, v17
	v_add_nc_u32_e32 v13, 0xfffffc10, v18
	s_or_b32 s0, s1, s0
	v_add_co_ci_u32_e64 v7, s0, 0, v7, s0
	v_cmp_ne_u32_e64 s0, v9, v15
	v_lshl_or_b32 v15, v13, 12, v4
	v_and_or_b32 v11, 0x1ff, v12, v11
	v_bfe_u32 v18, v12, 20, 11
	v_cndmask_b32_e64 v9, 0, 1, s0
	v_cmp_gt_i32_e64 s0, 31, v16
	v_or_b32_e32 v9, v17, v9
	v_cndmask_b32_e64 v14, 0x7c00, v7, s0
	v_cmp_ne_u32_e64 s0, 0, v11
	v_cvt_f64_f32_e32 v[6:7], v6
	v_lshrrev_b32_e32 v17, 8, v12
	v_cndmask_b32_e64 v11, 0, 1, s0
	v_cmp_ne_u32_e64 s0, 0, v0
	v_and_or_b32 v11, 0xffe, v17, v11
	v_cndmask_b32_e64 v0, 0, 1, s0
	v_cmp_gt_i32_e64 s0, 1, v13
	v_lshrrev_b32_e32 v17, 16, v1
	v_or_b32_e32 v20, 0x1000, v11
	v_lshl_or_b32 v0, v0, 9, 0x7c00
	v_cndmask_b32_e64 v9, v15, v9, s0
	v_sub_nc_u32_e32 v15, 0x3f1, v18
	v_cmp_eq_u32_e64 s0, 0x40f, v16
	v_lshrrev_b32_e32 v16, 16, v8
	v_mul_f16_sdwa v21, v73, v17 dst_sel:DWORD dst_unused:UNUSED_PAD src0_sel:WORD_1 src1_sel:DWORD
	v_and_b32_e32 v19, 7, v9
	v_med3_i32 v15, v15, 0, 13
	v_cndmask_b32_e64 v0, v14, v0, s0
	v_lshrrev_b32_e32 v8, 2, v9
	v_mul_f64 v[6:7], v[6:7], s[4:5]
	v_cmp_lt_i32_e64 s0, 5, v19
	v_cmp_eq_u32_e64 s1, 3, v19
	v_lshrrev_b32_e32 v14, v15, v20
	v_fmac_f16_e32 v21, v73, v1
	v_add_nc_u32_e32 v18, 0xfffffc10, v18
	v_and_or_b32 v0, 0x8000, v16, v0
	s_or_b32 s0, s1, s0
	v_lshlrev_b32_e32 v15, v15, v14
	v_add_co_ci_u32_e64 v19, s0, 0, v8, s0
	v_cmp_ne_u32_e64 s0, 0, v4
	v_cvt_f32_f16_e32 v9, v21
	v_mul_f16_sdwa v1, v73, v1 dst_sel:DWORD dst_unused:UNUSED_PAD src0_sel:WORD_1 src1_sel:DWORD
	v_and_b32_e32 v0, 0xffff, v0
	v_cndmask_b32_e64 v4, 0, 1, s0
	v_cmp_ne_u32_e64 s0, v15, v20
	v_cvt_f64_f32_e32 v[8:9], v9
	v_fma_f16 v1, v73, v17, -v1
	v_lshl_or_b32 v4, v4, 9, 0x7c00
	v_cndmask_b32_e64 v15, 0, 1, s0
	v_cmp_gt_i32_e64 s0, 31, v13
	v_and_or_b32 v6, 0x1ff, v7, v6
	v_cvt_f32_f16_e32 v1, v1
	v_or_b32_e32 v14, v14, v15
	v_cndmask_b32_e64 v19, 0x7c00, v19, s0
	v_cmp_eq_u32_e64 s0, 0x40f, v13
	v_lshl_or_b32 v15, v18, 12, v11
	v_cndmask_b32_e64 v4, v19, v4, s0
	v_cmp_gt_i32_e64 s0, 1, v18
	v_and_or_b32 v4, 0x8000, v10, v4
	v_cndmask_b32_e64 v13, v15, v14, s0
	v_cmp_ne_u32_e64 s0, 0, v6
	v_lshrrev_b32_e32 v14, 8, v7
	v_bfe_u32 v15, v7, 20, 11
	v_mul_f64 v[8:9], v[8:9], s[4:5]
	v_and_b32_e32 v19, 7, v13
	v_cndmask_b32_e64 v6, 0, 1, s0
	v_lshrrev_b32_e32 v13, 2, v13
	v_lshl_or_b32 v17, v4, 16, v0
	v_cmp_lt_i32_e64 s0, 5, v19
	v_and_or_b32 v6, 0xffe, v14, v6
	v_sub_nc_u32_e32 v14, 0x3f1, v15
	v_cmp_eq_u32_e64 s1, 3, v19
	v_lshrrev_b32_e32 v19, 16, v5
	v_or_b32_e32 v10, 0x1000, v6
	v_med3_i32 v14, v14, 0, 13
	s_or_b32 s0, s1, s0
	v_mul_f16_sdwa v20, v72, v19 dst_sel:DWORD dst_unused:UNUSED_PAD src0_sel:WORD_1 src1_sel:DWORD
	v_add_co_ci_u32_e64 v13, s0, 0, v13, s0
	v_lshrrev_b32_e32 v16, v14, v10
	v_cmp_gt_i32_e64 s0, 31, v18
	v_fmac_f16_e32 v20, v72, v5
	v_mul_f16_sdwa v5, v72, v5 dst_sel:DWORD dst_unused:UNUSED_PAD src0_sel:WORD_1 src1_sel:DWORD
	v_and_or_b32 v8, 0x1ff, v9, v8
	v_lshlrev_b32_e32 v0, v14, v16
	v_cndmask_b32_e64 v4, 0x7c00, v13, s0
	v_add_nc_u32_e32 v13, 0xfffffc10, v15
	v_lshrrev_b32_e32 v14, 8, v9
	v_bfe_u32 v15, v9, 20, 11
	v_cmp_ne_u32_e64 s0, v0, v10
	v_cvt_f64_f32_e32 v[0:1], v1
	v_fma_f16 v5, v72, v19, -v5
	v_cndmask_b32_e64 v10, 0, 1, s0
	v_cmp_ne_u32_e64 s0, 0, v8
	v_or_b32_e32 v10, v16, v10
	v_cndmask_b32_e64 v8, 0, 1, s0
	v_cmp_ne_u32_e64 s0, 0, v11
	v_lshl_or_b32 v16, v13, 12, v6
	v_and_or_b32 v8, 0xffe, v14, v8
	v_cndmask_b32_e64 v11, 0, 1, s0
	v_sub_nc_u32_e32 v14, 0x3f1, v15
	v_cmp_gt_i32_e64 s0, 1, v13
	v_lshl_or_b32 v11, v11, 9, 0x7c00
	v_med3_i32 v14, v14, 0, 13
	v_cndmask_b32_e64 v10, v16, v10, s0
	v_or_b32_e32 v16, 0x1000, v8
	v_cmp_eq_u32_e64 s0, 0x40f, v18
	v_mul_f64 v[0:1], v[0:1], s[4:5]
	v_lshrrev_b32_e32 v18, v14, v16
	v_cndmask_b32_e64 v4, v4, v11, s0
	v_lshrrev_b32_e32 v11, 16, v12
	v_and_b32_e32 v12, 7, v10
	v_add_co_u32 v2, s0, v2, s8
	v_add_co_ci_u32_e64 v3, s0, s9, v3, s0
	v_and_or_b32 v4, 0x8000, v11, v4
	v_lshlrev_b32_e32 v11, v14, v18
	v_cmp_lt_i32_e64 s0, 5, v12
	v_cmp_eq_u32_e64 s1, 3, v12
	v_lshrrev_b32_e32 v10, 2, v10
	v_add_nc_u32_e32 v12, 0xfffffc10, v15
	v_cmp_ne_u32_e64 s2, v11, v16
	v_cvt_f32_f16_e32 v14, v20
	s_or_b32 s0, s1, s0
	v_and_b32_e32 v4, 0xffff, v4
	v_add_co_ci_u32_e64 v15, s0, 0, v10, s0
	v_cndmask_b32_e64 v11, 0, 1, s2
	v_cmp_ne_u32_e64 s0, 0, v6
	v_and_or_b32 v0, 0x1ff, v1, v0
	v_or_b32_e32 v16, v18, v11
	v_cvt_f64_f32_e32 v[10:11], v14
	v_lshl_or_b32 v14, v12, 12, v8
	v_cndmask_b32_e64 v6, 0, 1, s0
	v_cmp_gt_i32_e64 s0, 1, v12
	v_bfe_u32 v18, v1, 20, 11
	v_lshl_or_b32 v6, v6, 9, 0x7c00
	v_cndmask_b32_e64 v14, v14, v16, s0
	v_cmp_ne_u32_e64 s0, 0, v0
	v_lshrrev_b32_e32 v16, 8, v1
	v_and_b32_e32 v20, 7, v14
	v_cndmask_b32_e64 v0, 0, 1, s0
	v_cmp_gt_i32_e64 s0, 31, v13
	v_cmp_eq_u32_e64 s1, 3, v20
	v_and_or_b32 v0, 0xffe, v16, v0
	v_cndmask_b32_e64 v15, 0x7c00, v15, s0
	v_cmp_eq_u32_e64 s0, 0x40f, v13
	v_lshrrev_b32_e32 v16, 16, v7
	v_or_b32_e32 v21, 0x1000, v0
	v_cndmask_b32_e64 v13, v15, v6, s0
	v_sub_nc_u32_e32 v15, 0x3f1, v18
	v_cmp_lt_i32_e64 s0, 5, v20
	v_mul_f64 v[6:7], v[10:11], s[4:5]
	v_and_or_b32 v11, 0x8000, v16, v13
	v_lshrrev_b32_e32 v13, 2, v14
	v_med3_i32 v10, v15, 0, 13
	s_or_b32 s0, s1, s0
	v_add_nc_u32_e32 v16, 0xfffffc10, v18
	v_lshl_or_b32 v15, v11, 16, v4
	v_add_co_ci_u32_e64 v13, s0, 0, v13, s0
	v_lshrrev_b32_e32 v14, v10, v21
	v_cmp_ne_u32_e64 s0, 0, v8
	v_lshl_or_b32 v11, v16, 12, v0
	v_lshrrev_b32_e32 v18, 16, v9
	v_lshlrev_b32_e32 v4, v10, v14
	v_cndmask_b32_e64 v8, 0, 1, s0
	v_cmp_gt_i32_e64 s0, 31, v12
	v_lshl_or_b32 v8, v8, 9, 0x7c00
	v_cndmask_b32_e64 v10, 0x7c00, v13, s0
	v_cmp_ne_u32_e64 s0, v4, v21
	ds_read_b32 v13, v70 offset:7400
	v_and_or_b32 v6, 0x1ff, v7, v6
	v_cndmask_b32_e64 v4, 0, 1, s0
	v_cmp_eq_u32_e64 s0, 0x40f, v12
	v_lshrrev_b32_e32 v12, 8, v7
	v_cndmask_b32_e64 v10, v10, v8, s0
	v_cmp_ne_u32_e64 s0, 0, v6
	v_or_b32_e32 v8, v14, v4
	v_cvt_f32_f16_e32 v4, v5
	v_bfe_u32 v14, v7, 20, 11
	v_and_or_b32 v18, 0x8000, v18, v10
	v_cndmask_b32_e64 v6, 0, 1, s0
	v_cmp_gt_i32_e64 s0, 1, v16
	v_cvt_f64_f32_e32 v[4:5], v4
	v_lshrrev_b32_e32 v7, 16, v7
	v_and_or_b32 v6, 0xffe, v12, v6
	v_cndmask_b32_e64 v11, v11, v8, s0
	v_sub_nc_u32_e32 v8, 0x3f1, v14
	s_waitcnt lgkmcnt(0)
	v_lshrrev_b32_e32 v12, 16, v13
	v_add_nc_u32_e32 v14, 0xfffffc10, v14
	v_or_b32_e32 v20, 0x1000, v6
	v_and_b32_e32 v19, 7, v11
	v_med3_i32 v21, v8, 0, 13
	v_mul_f16_sdwa v22, v71, v12 dst_sel:DWORD dst_unused:UNUSED_PAD src0_sel:WORD_1 src1_sel:DWORD
	v_add_co_u32 v8, s0, v2, s6
	v_add_co_ci_u32_e64 v9, s0, s7, v3, s0
	v_lshrrev_b32_e32 v23, v21, v20
	v_fmac_f16_e32 v22, v71, v13
	v_cmp_lt_i32_e64 s0, 5, v19
	v_cmp_eq_u32_e64 s1, 3, v19
	v_lshrrev_b32_e32 v10, 2, v11
	v_lshlrev_b32_e32 v19, v21, v23
	v_cvt_f32_f16_e32 v11, v22
	v_mul_f64 v[4:5], v[4:5], s[4:5]
	s_or_b32 s0, s1, s0
	v_mul_f16_sdwa v13, v71, v13 dst_sel:DWORD dst_unused:UNUSED_PAD src0_sel:WORD_1 src1_sel:DWORD
	v_add_co_ci_u32_e64 v21, s0, 0, v10, s0
	v_cmp_ne_u32_e64 s0, v19, v20
	v_cvt_f64_f32_e32 v[10:11], v11
	v_lshl_or_b32 v20, v14, 12, v6
	v_fma_f16 v12, v71, v12, -v13
	v_cndmask_b32_e64 v19, 0, 1, s0
	v_cmp_ne_u32_e64 s0, 0, v0
	v_cvt_f32_f16_e32 v12, v12
	v_or_b32_e32 v19, v23, v19
	v_cndmask_b32_e64 v0, 0, 1, s0
	v_cmp_gt_i32_e64 s0, 31, v16
	v_lshl_or_b32 v0, v0, 9, 0x7c00
	v_cndmask_b32_e64 v13, 0x7c00, v21, s0
	v_cmp_gt_i32_e64 s0, 1, v14
	v_and_or_b32 v4, 0x1ff, v5, v4
	v_bfe_u32 v21, v5, 20, 11
	v_cndmask_b32_e64 v19, v20, v19, s0
	v_cmp_eq_u32_e64 s0, 0x40f, v16
	v_mul_f64 v[10:11], v[10:11], s[4:5]
	v_lshrrev_b32_e32 v16, 16, v1
	v_lshrrev_b32_e32 v20, 8, v5
	;; [unrolled: 1-line block ×3, first 2 shown]
	v_cndmask_b32_e64 v13, v13, v0, s0
	v_cvt_f64_f32_e32 v[0:1], v12
	v_cmp_ne_u32_e64 s0, 0, v4
	v_and_b32_e32 v12, 7, v19
	v_and_or_b32 v13, 0x8000, v16, v13
	v_and_b32_e32 v16, 0xffff, v18
	v_cndmask_b32_e64 v4, 0, 1, s0
	v_cmp_lt_i32_e64 s0, 5, v12
	v_cmp_eq_u32_e64 s1, 3, v12
	v_sub_nc_u32_e32 v18, 0x3f1, v21
	v_lshl_or_b32 v12, v13, 16, v16
	v_lshrrev_b32_e32 v13, 2, v19
	v_and_or_b32 v4, 0xffe, v20, v4
	s_or_b32 s0, s1, s0
	v_med3_i32 v18, v18, 0, 13
	v_add_co_ci_u32_e64 v13, s0, 0, v13, s0
	v_or_b32_e32 v16, 0x1000, v4
	v_cmp_ne_u32_e64 s0, 0, v6
	v_and_or_b32 v10, 0x1ff, v11, v10
	v_lshrrev_b32_e32 v20, 8, v11
	v_mul_f64 v[0:1], v[0:1], s[4:5]
	v_lshrrev_b32_e32 v19, v18, v16
	v_cndmask_b32_e64 v6, 0, 1, s0
	v_cmp_gt_i32_e64 s0, 31, v14
	v_bfe_u32 v22, v11, 20, 11
	v_lshrrev_b32_e32 v11, 16, v11
	v_lshlrev_b32_e32 v18, v18, v19
	v_lshl_or_b32 v6, v6, 9, 0x7c00
	v_cndmask_b32_e64 v13, 0x7c00, v13, s0
	v_cmp_ne_u32_e64 s0, 0, v10
	v_cndmask_b32_e64 v10, 0, 1, s0
	v_cmp_ne_u32_e64 s0, v18, v16
	v_add_nc_u32_e32 v18, 0xfffffc10, v21
	v_and_or_b32 v10, 0xffe, v20, v10
	v_cndmask_b32_e64 v16, 0, 1, s0
	v_sub_nc_u32_e32 v20, 0x3f1, v22
	v_cmp_eq_u32_e64 s0, 0x40f, v14
	v_lshl_or_b32 v14, v18, 12, v4
	v_and_or_b32 v0, 0x1ff, v1, v0
	v_bfe_u32 v21, v1, 20, 11
	v_cndmask_b32_e64 v6, v13, v6, s0
	v_or_b32_e32 v13, v19, v16
	v_or_b32_e32 v16, 0x1000, v10
	v_med3_i32 v19, v20, 0, 13
	v_cmp_gt_i32_e64 s0, 1, v18
	v_lshrrev_b32_e32 v20, 8, v1
	v_and_or_b32 v6, 0x8000, v7, v6
	v_sub_nc_u32_e32 v7, 0x3f1, v21
	v_lshrrev_b32_e32 v1, 16, v1
	v_cndmask_b32_e64 v13, v14, v13, s0
	v_lshrrev_b32_e32 v14, v19, v16
	v_cmp_ne_u32_e64 s0, 0, v0
	v_med3_i32 v7, v7, 0, 13
	v_and_b32_e32 v6, 0xffff, v6
	v_and_b32_e32 v23, 7, v13
	v_lshlrev_b32_e32 v19, v19, v14
	v_cndmask_b32_e64 v0, 0, 1, s0
	v_lshrrev_b32_e32 v13, 2, v13
	v_cmp_lt_i32_e64 s0, 5, v23
	v_cmp_ne_u32_e64 s1, v19, v16
	v_and_or_b32 v0, 0xffe, v20, v0
	v_add_nc_u32_e32 v20, 0xfffffc10, v22
	v_cndmask_b32_e64 v16, 0, 1, s1
	v_cmp_eq_u32_e64 s1, 3, v23
	v_or_b32_e32 v19, 0x1000, v0
	v_lshl_or_b32 v22, v20, 12, v10
	v_or_b32_e32 v14, v14, v16
	s_or_b32 s0, s1, s0
	v_lshrrev_b32_e32 v16, v7, v19
	v_add_co_ci_u32_e64 v13, s0, 0, v13, s0
	v_cmp_gt_i32_e64 s0, 1, v20
	v_lshlrev_b32_e32 v7, v7, v16
	v_cndmask_b32_e64 v14, v22, v14, s0
	v_cmp_ne_u32_e64 s0, 0, v4
	v_cndmask_b32_e64 v4, 0, 1, s0
	v_cmp_ne_u32_e64 s0, v7, v19
	v_add_nc_u32_e32 v19, 0xfffffc10, v21
	v_and_b32_e32 v21, 7, v14
	v_lshl_or_b32 v4, v4, 9, 0x7c00
	v_cndmask_b32_e64 v7, 0, 1, s0
	v_cmp_gt_i32_e64 s0, 31, v18
	v_cmp_gt_i32_e64 s2, 1, v19
	v_cmp_eq_u32_e64 s1, 3, v21
	v_or_b32_e32 v7, v16, v7
	v_lshl_or_b32 v16, v19, 12, v0
	v_cndmask_b32_e64 v13, 0x7c00, v13, s0
	v_cmp_lt_i32_e64 s0, 5, v21
	v_cndmask_b32_e64 v7, v16, v7, s2
	v_cmp_eq_u32_e64 s2, 0x40f, v18
	s_or_b32 s0, s1, s0
	v_cndmask_b32_e64 v4, v13, v4, s2
	v_lshrrev_b32_e32 v13, 2, v14
	v_and_b32_e32 v14, 7, v7
	v_lshrrev_b32_e32 v7, 2, v7
	v_cmp_gt_i32_e64 s2, 31, v20
	v_add_co_ci_u32_e64 v13, s0, 0, v13, s0
	v_cmp_ne_u32_e64 s0, 0, v10
	v_cmp_eq_u32_e64 s1, 3, v14
	v_cndmask_b32_e64 v13, 0x7c00, v13, s2
	v_cndmask_b32_e64 v10, 0, 1, s0
	v_cmp_lt_i32_e64 s0, 5, v14
	v_lshl_or_b32 v10, v10, 9, 0x7c00
	s_or_b32 s0, s1, s0
	v_add_co_ci_u32_e64 v7, s0, 0, v7, s0
	v_cmp_ne_u32_e64 s0, 0, v0
	v_cndmask_b32_e64 v0, 0, 1, s0
	v_cmp_eq_u32_e64 s0, 0x40f, v20
	v_lshl_or_b32 v0, v0, 9, 0x7c00
	v_cndmask_b32_e64 v10, v13, v10, s0
	v_cmp_gt_i32_e64 s0, 31, v19
	v_and_or_b32 v13, 0x8000, v5, v4
	v_and_or_b32 v10, 0x8000, v11, v10
	v_cndmask_b32_e64 v7, 0x7c00, v7, s0
	v_cmp_eq_u32_e64 s0, 0x40f, v19
	v_lshl_or_b32 v11, v13, 16, v6
	v_cndmask_b32_e64 v0, v7, v0, s0
	v_add_co_u32 v4, s0, v8, s6
	v_add_co_ci_u32_e64 v5, s0, s7, v9, s0
	v_and_or_b32 v0, 0x8000, v1, v0
	v_and_b32_e32 v1, 0xffff, v10
	v_add_co_u32 v6, s0, v4, s6
	v_add_co_ci_u32_e64 v7, s0, s7, v5, s0
	v_lshl_or_b32 v10, v0, 16, v1
	v_add_co_u32 v0, s0, v6, s6
	v_add_co_ci_u32_e64 v1, s0, s7, v7, s0
	global_store_dword v[2:3], v17, off
	global_store_dword v[8:9], v15, off
	;; [unrolled: 1-line block ×5, first 2 shown]
	s_and_b32 exec_lo, exec_lo, vcc_lo
	s_cbranch_execz .LBB0_31
; %bb.30:
	global_load_dword v2, v[53:54], off offset:1500
	ds_read_b32 v3, v70 offset:1500
	ds_read_b32 v6, v70 offset:3100
	;; [unrolled: 1-line block ×5, first 2 shown]
	s_waitcnt lgkmcnt(4)
	v_lshrrev_b32_e32 v4, 16, v3
	s_waitcnt vmcnt(0)
	v_mul_f16_sdwa v5, v4, v2 dst_sel:DWORD dst_unused:UNUSED_PAD src0_sel:DWORD src1_sel:WORD_1
	v_mul_f16_sdwa v10, v3, v2 dst_sel:DWORD dst_unused:UNUSED_PAD src0_sel:DWORD src1_sel:WORD_1
	v_fmac_f16_e32 v5, v3, v2
	v_fma_f16 v2, v2, v4, -v10
	v_cvt_f32_f16_e32 v3, v5
	v_cvt_f32_f16_e32 v4, v2
	v_cvt_f64_f32_e32 v[2:3], v3
	v_cvt_f64_f32_e32 v[4:5], v4
	v_mul_f64 v[2:3], v[2:3], s[4:5]
	v_mul_f64 v[4:5], v[4:5], s[4:5]
	v_and_or_b32 v2, 0x1ff, v3, v2
	v_and_or_b32 v4, 0x1ff, v5, v4
	v_lshrrev_b32_e32 v10, 8, v3
	v_bfe_u32 v11, v3, 20, 11
	v_lshrrev_b32_e32 v12, 8, v5
	v_cmp_ne_u32_e32 vcc_lo, 0, v2
	v_bfe_u32 v13, v5, 20, 11
	v_lshrrev_b32_e32 v3, 16, v3
	v_sub_nc_u32_e32 v14, 0x3f1, v11
	v_add_nc_u32_e32 v11, 0xfffffc10, v11
	v_cndmask_b32_e64 v2, 0, 1, vcc_lo
	v_cmp_ne_u32_e32 vcc_lo, 0, v4
	v_lshrrev_b32_e32 v5, 16, v5
	v_and_or_b32 v2, 0xffe, v10, v2
	v_cndmask_b32_e64 v4, 0, 1, vcc_lo
	v_sub_nc_u32_e32 v10, 0x3f1, v13
	v_add_nc_u32_e32 v13, 0xfffffc10, v13
	v_and_or_b32 v4, 0xffe, v12, v4
	v_med3_i32 v12, v14, 0, 13
	v_or_b32_e32 v14, 0x1000, v2
	v_med3_i32 v10, v10, 0, 13
	v_or_b32_e32 v15, 0x1000, v4
	v_lshrrev_b32_e32 v16, v12, v14
	v_lshrrev_b32_e32 v17, v10, v15
	v_lshlrev_b32_e32 v12, v12, v16
	v_lshlrev_b32_e32 v10, v10, v17
	v_cmp_ne_u32_e32 vcc_lo, v12, v14
	v_lshl_or_b32 v14, v11, 12, v2
	v_cndmask_b32_e64 v12, 0, 1, vcc_lo
	v_cmp_ne_u32_e32 vcc_lo, v10, v15
	v_lshl_or_b32 v15, v13, 12, v4
	v_or_b32_e32 v12, v16, v12
	v_cndmask_b32_e64 v10, 0, 1, vcc_lo
	v_cmp_gt_i32_e32 vcc_lo, 1, v11
	v_or_b32_e32 v10, v17, v10
	v_cndmask_b32_e32 v12, v14, v12, vcc_lo
	v_cmp_gt_i32_e32 vcc_lo, 1, v13
	v_and_b32_e32 v14, 7, v12
	v_cndmask_b32_e32 v10, v15, v10, vcc_lo
	v_cmp_ne_u32_e32 vcc_lo, 0, v2
	v_lshrrev_b32_e32 v12, 2, v12
	v_cmp_eq_u32_e64 s0, 3, v14
	v_and_b32_e32 v15, 7, v10
	v_cndmask_b32_e64 v2, 0, 1, vcc_lo
	v_cmp_ne_u32_e32 vcc_lo, 0, v4
	v_lshrrev_b32_e32 v10, 2, v10
	v_cmp_lt_i32_e64 s1, 5, v15
	v_cmp_eq_u32_e64 s2, 3, v15
	v_cndmask_b32_e64 v4, 0, 1, vcc_lo
	v_cmp_lt_i32_e32 vcc_lo, 5, v14
	v_lshl_or_b32 v2, v2, 9, 0x7c00
	v_lshl_or_b32 v4, v4, 9, 0x7c00
	s_or_b32 vcc_lo, s0, vcc_lo
	v_add_co_ci_u32_e32 v12, vcc_lo, 0, v12, vcc_lo
	s_or_b32 vcc_lo, s2, s1
	v_add_co_ci_u32_e32 v10, vcc_lo, 0, v10, vcc_lo
	v_cmp_gt_i32_e32 vcc_lo, 31, v11
	v_cndmask_b32_e32 v12, 0x7c00, v12, vcc_lo
	v_cmp_gt_i32_e32 vcc_lo, 31, v13
	v_cndmask_b32_e32 v10, 0x7c00, v10, vcc_lo
	v_cmp_eq_u32_e32 vcc_lo, 0x40f, v11
	v_cndmask_b32_e32 v2, v12, v2, vcc_lo
	v_cmp_eq_u32_e32 vcc_lo, 0x40f, v13
	v_and_or_b32 v2, 0x8000, v3, v2
	v_cndmask_b32_e32 v4, v10, v4, vcc_lo
	v_add_co_u32 v0, vcc_lo, v0, s8
	v_add_co_ci_u32_e32 v1, vcc_lo, s9, v1, vcc_lo
	v_and_or_b32 v3, 0x8000, v5, v4
	v_and_b32_e32 v2, 0xffff, v2
	v_lshl_or_b32 v2, v3, 16, v2
	s_waitcnt lgkmcnt(3)
	v_lshrrev_b32_e32 v3, 16, v6
	global_store_dword v[0:1], v2, off
	global_load_dword v2, v[51:52], off offset:1052
	s_waitcnt vmcnt(0)
	v_mul_f16_sdwa v4, v3, v2 dst_sel:DWORD dst_unused:UNUSED_PAD src0_sel:DWORD src1_sel:WORD_1
	v_mul_f16_sdwa v5, v6, v2 dst_sel:DWORD dst_unused:UNUSED_PAD src0_sel:DWORD src1_sel:WORD_1
	v_fmac_f16_e32 v4, v6, v2
	v_fma_f16 v2, v2, v3, -v5
	v_cvt_f32_f16_e32 v3, v4
	v_cvt_f32_f16_e32 v4, v2
	v_cvt_f64_f32_e32 v[2:3], v3
	v_cvt_f64_f32_e32 v[4:5], v4
	v_mul_f64 v[2:3], v[2:3], s[4:5]
	v_mul_f64 v[4:5], v[4:5], s[4:5]
	v_and_or_b32 v2, 0x1ff, v3, v2
	v_and_or_b32 v4, 0x1ff, v5, v4
	v_lshrrev_b32_e32 v6, 8, v3
	v_bfe_u32 v10, v3, 20, 11
	v_lshrrev_b32_e32 v11, 8, v5
	v_cmp_ne_u32_e32 vcc_lo, 0, v2
	v_bfe_u32 v12, v5, 20, 11
	v_lshrrev_b32_e32 v3, 16, v3
	v_sub_nc_u32_e32 v13, 0x3f1, v10
	v_add_nc_u32_e32 v10, 0xfffffc10, v10
	v_cndmask_b32_e64 v2, 0, 1, vcc_lo
	v_cmp_ne_u32_e32 vcc_lo, 0, v4
	v_lshrrev_b32_e32 v5, 16, v5
	v_and_or_b32 v2, 0xffe, v6, v2
	v_cndmask_b32_e64 v4, 0, 1, vcc_lo
	v_sub_nc_u32_e32 v6, 0x3f1, v12
	v_add_nc_u32_e32 v12, 0xfffffc10, v12
	v_and_or_b32 v4, 0xffe, v11, v4
	v_med3_i32 v11, v13, 0, 13
	v_or_b32_e32 v13, 0x1000, v2
	v_med3_i32 v6, v6, 0, 13
	v_or_b32_e32 v14, 0x1000, v4
	v_lshrrev_b32_e32 v15, v11, v13
	v_lshrrev_b32_e32 v16, v6, v14
	v_lshlrev_b32_e32 v11, v11, v15
	v_lshlrev_b32_e32 v6, v6, v16
	v_cmp_ne_u32_e32 vcc_lo, v11, v13
	v_lshl_or_b32 v13, v10, 12, v2
	v_cndmask_b32_e64 v11, 0, 1, vcc_lo
	v_cmp_ne_u32_e32 vcc_lo, v6, v14
	v_lshl_or_b32 v14, v12, 12, v4
	v_or_b32_e32 v11, v15, v11
	v_cndmask_b32_e64 v6, 0, 1, vcc_lo
	v_cmp_gt_i32_e32 vcc_lo, 1, v10
	v_or_b32_e32 v6, v16, v6
	v_cndmask_b32_e32 v11, v13, v11, vcc_lo
	v_cmp_gt_i32_e32 vcc_lo, 1, v12
	v_and_b32_e32 v13, 7, v11
	v_cndmask_b32_e32 v6, v14, v6, vcc_lo
	v_cmp_ne_u32_e32 vcc_lo, 0, v2
	v_lshrrev_b32_e32 v11, 2, v11
	v_cmp_eq_u32_e64 s0, 3, v13
	v_and_b32_e32 v14, 7, v6
	v_cndmask_b32_e64 v2, 0, 1, vcc_lo
	v_cmp_ne_u32_e32 vcc_lo, 0, v4
	v_lshrrev_b32_e32 v6, 2, v6
	v_cmp_lt_i32_e64 s1, 5, v14
	v_cmp_eq_u32_e64 s2, 3, v14
	v_cndmask_b32_e64 v4, 0, 1, vcc_lo
	v_cmp_lt_i32_e32 vcc_lo, 5, v13
	v_lshl_or_b32 v2, v2, 9, 0x7c00
	v_lshl_or_b32 v4, v4, 9, 0x7c00
	s_or_b32 vcc_lo, s0, vcc_lo
	v_add_co_ci_u32_e32 v11, vcc_lo, 0, v11, vcc_lo
	s_or_b32 vcc_lo, s2, s1
	v_add_co_ci_u32_e32 v6, vcc_lo, 0, v6, vcc_lo
	v_cmp_gt_i32_e32 vcc_lo, 31, v10
	v_cndmask_b32_e32 v11, 0x7c00, v11, vcc_lo
	v_cmp_gt_i32_e32 vcc_lo, 31, v12
	v_cndmask_b32_e32 v6, 0x7c00, v6, vcc_lo
	v_cmp_eq_u32_e32 vcc_lo, 0x40f, v10
	v_cndmask_b32_e32 v2, v11, v2, vcc_lo
	v_cmp_eq_u32_e32 vcc_lo, 0x40f, v12
	v_and_or_b32 v2, 0x8000, v3, v2
	v_cndmask_b32_e32 v4, v6, v4, vcc_lo
	v_add_co_u32 v0, vcc_lo, v0, s6
	v_add_co_ci_u32_e32 v1, vcc_lo, s7, v1, vcc_lo
	v_and_or_b32 v3, 0x8000, v5, v4
	v_and_b32_e32 v2, 0xffff, v2
	v_lshl_or_b32 v2, v3, 16, v2
	s_waitcnt lgkmcnt(2)
	v_lshrrev_b32_e32 v3, 16, v7
	global_store_dword v[0:1], v2, off
	global_load_dword v2, v[49:50], off offset:604
	s_waitcnt vmcnt(0)
	v_mul_f16_sdwa v4, v3, v2 dst_sel:DWORD dst_unused:UNUSED_PAD src0_sel:DWORD src1_sel:WORD_1
	v_mul_f16_sdwa v5, v7, v2 dst_sel:DWORD dst_unused:UNUSED_PAD src0_sel:DWORD src1_sel:WORD_1
	v_fmac_f16_e32 v4, v7, v2
	v_fma_f16 v2, v2, v3, -v5
	v_cvt_f32_f16_e32 v3, v4
	v_cvt_f32_f16_e32 v4, v2
	v_cvt_f64_f32_e32 v[2:3], v3
	v_cvt_f64_f32_e32 v[4:5], v4
	v_mul_f64 v[2:3], v[2:3], s[4:5]
	v_mul_f64 v[4:5], v[4:5], s[4:5]
	v_and_or_b32 v2, 0x1ff, v3, v2
	v_and_or_b32 v4, 0x1ff, v5, v4
	v_lshrrev_b32_e32 v6, 8, v3
	v_bfe_u32 v7, v3, 20, 11
	v_lshrrev_b32_e32 v10, 8, v5
	v_cmp_ne_u32_e32 vcc_lo, 0, v2
	v_bfe_u32 v11, v5, 20, 11
	v_lshrrev_b32_e32 v3, 16, v3
	v_sub_nc_u32_e32 v12, 0x3f1, v7
	v_add_nc_u32_e32 v7, 0xfffffc10, v7
	v_cndmask_b32_e64 v2, 0, 1, vcc_lo
	v_cmp_ne_u32_e32 vcc_lo, 0, v4
	v_lshrrev_b32_e32 v5, 16, v5
	v_and_or_b32 v2, 0xffe, v6, v2
	v_cndmask_b32_e64 v4, 0, 1, vcc_lo
	v_sub_nc_u32_e32 v6, 0x3f1, v11
	v_add_nc_u32_e32 v11, 0xfffffc10, v11
	v_and_or_b32 v4, 0xffe, v10, v4
	v_med3_i32 v10, v12, 0, 13
	v_or_b32_e32 v12, 0x1000, v2
	v_med3_i32 v6, v6, 0, 13
	v_or_b32_e32 v13, 0x1000, v4
	v_lshrrev_b32_e32 v14, v10, v12
	v_lshrrev_b32_e32 v15, v6, v13
	v_lshlrev_b32_e32 v10, v10, v14
	v_lshlrev_b32_e32 v6, v6, v15
	v_cmp_ne_u32_e32 vcc_lo, v10, v12
	v_lshl_or_b32 v12, v7, 12, v2
	v_cndmask_b32_e64 v10, 0, 1, vcc_lo
	v_cmp_ne_u32_e32 vcc_lo, v6, v13
	v_lshl_or_b32 v13, v11, 12, v4
	v_or_b32_e32 v10, v14, v10
	v_cndmask_b32_e64 v6, 0, 1, vcc_lo
	v_cmp_gt_i32_e32 vcc_lo, 1, v7
	v_or_b32_e32 v6, v15, v6
	v_cndmask_b32_e32 v10, v12, v10, vcc_lo
	v_cmp_gt_i32_e32 vcc_lo, 1, v11
	v_and_b32_e32 v12, 7, v10
	v_cndmask_b32_e32 v6, v13, v6, vcc_lo
	v_cmp_ne_u32_e32 vcc_lo, 0, v2
	v_lshrrev_b32_e32 v10, 2, v10
	v_cmp_eq_u32_e64 s0, 3, v12
	v_and_b32_e32 v13, 7, v6
	v_cndmask_b32_e64 v2, 0, 1, vcc_lo
	v_cmp_ne_u32_e32 vcc_lo, 0, v4
	v_lshrrev_b32_e32 v6, 2, v6
	v_cmp_lt_i32_e64 s1, 5, v13
	v_cmp_eq_u32_e64 s2, 3, v13
	v_cndmask_b32_e64 v4, 0, 1, vcc_lo
	v_cmp_lt_i32_e32 vcc_lo, 5, v12
	v_lshl_or_b32 v2, v2, 9, 0x7c00
	v_lshl_or_b32 v4, v4, 9, 0x7c00
	s_or_b32 vcc_lo, s0, vcc_lo
	v_add_co_ci_u32_e32 v10, vcc_lo, 0, v10, vcc_lo
	s_or_b32 vcc_lo, s2, s1
	v_add_co_ci_u32_e32 v6, vcc_lo, 0, v6, vcc_lo
	v_cmp_gt_i32_e32 vcc_lo, 31, v7
	v_cndmask_b32_e32 v10, 0x7c00, v10, vcc_lo
	v_cmp_gt_i32_e32 vcc_lo, 31, v11
	v_cndmask_b32_e32 v6, 0x7c00, v6, vcc_lo
	v_cmp_eq_u32_e32 vcc_lo, 0x40f, v7
	v_cndmask_b32_e32 v2, v10, v2, vcc_lo
	v_cmp_eq_u32_e32 vcc_lo, 0x40f, v11
	v_and_or_b32 v2, 0x8000, v3, v2
	v_cndmask_b32_e32 v4, v6, v4, vcc_lo
	v_add_co_u32 v0, vcc_lo, v0, s6
	v_add_co_ci_u32_e32 v1, vcc_lo, s7, v1, vcc_lo
	v_and_or_b32 v3, 0x8000, v5, v4
	v_and_b32_e32 v2, 0xffff, v2
	v_lshl_or_b32 v2, v3, 16, v2
	s_waitcnt lgkmcnt(1)
	v_lshrrev_b32_e32 v3, 16, v8
	global_store_dword v[0:1], v2, off
	global_load_dword v2, v[47:48], off offset:156
	s_waitcnt vmcnt(0)
	v_mul_f16_sdwa v4, v3, v2 dst_sel:DWORD dst_unused:UNUSED_PAD src0_sel:DWORD src1_sel:WORD_1
	v_mul_f16_sdwa v5, v8, v2 dst_sel:DWORD dst_unused:UNUSED_PAD src0_sel:DWORD src1_sel:WORD_1
	v_fmac_f16_e32 v4, v8, v2
	v_fma_f16 v2, v2, v3, -v5
	v_cvt_f32_f16_e32 v3, v4
	v_cvt_f32_f16_e32 v4, v2
	v_cvt_f64_f32_e32 v[2:3], v3
	v_cvt_f64_f32_e32 v[4:5], v4
	v_mul_f64 v[2:3], v[2:3], s[4:5]
	v_mul_f64 v[4:5], v[4:5], s[4:5]
	v_and_or_b32 v2, 0x1ff, v3, v2
	v_and_or_b32 v4, 0x1ff, v5, v4
	v_lshrrev_b32_e32 v6, 8, v3
	v_bfe_u32 v7, v3, 20, 11
	v_lshrrev_b32_e32 v8, 8, v5
	v_cmp_ne_u32_e32 vcc_lo, 0, v2
	v_bfe_u32 v10, v5, 20, 11
	v_lshrrev_b32_e32 v3, 16, v3
	v_sub_nc_u32_e32 v11, 0x3f1, v7
	v_add_nc_u32_e32 v7, 0xfffffc10, v7
	v_cndmask_b32_e64 v2, 0, 1, vcc_lo
	v_cmp_ne_u32_e32 vcc_lo, 0, v4
	v_lshrrev_b32_e32 v5, 16, v5
	v_and_or_b32 v2, 0xffe, v6, v2
	v_cndmask_b32_e64 v4, 0, 1, vcc_lo
	v_sub_nc_u32_e32 v6, 0x3f1, v10
	v_add_nc_u32_e32 v10, 0xfffffc10, v10
	v_and_or_b32 v4, 0xffe, v8, v4
	v_med3_i32 v8, v11, 0, 13
	v_or_b32_e32 v11, 0x1000, v2
	v_med3_i32 v6, v6, 0, 13
	v_or_b32_e32 v12, 0x1000, v4
	v_lshrrev_b32_e32 v13, v8, v11
	v_lshrrev_b32_e32 v14, v6, v12
	v_lshlrev_b32_e32 v8, v8, v13
	v_lshlrev_b32_e32 v6, v6, v14
	v_cmp_ne_u32_e32 vcc_lo, v8, v11
	v_lshl_or_b32 v11, v7, 12, v2
	v_cndmask_b32_e64 v8, 0, 1, vcc_lo
	v_cmp_ne_u32_e32 vcc_lo, v6, v12
	v_lshl_or_b32 v12, v10, 12, v4
	v_or_b32_e32 v8, v13, v8
	v_cndmask_b32_e64 v6, 0, 1, vcc_lo
	v_cmp_gt_i32_e32 vcc_lo, 1, v7
	v_or_b32_e32 v6, v14, v6
	v_cndmask_b32_e32 v8, v11, v8, vcc_lo
	v_cmp_gt_i32_e32 vcc_lo, 1, v10
	v_and_b32_e32 v11, 7, v8
	v_cndmask_b32_e32 v6, v12, v6, vcc_lo
	v_cmp_ne_u32_e32 vcc_lo, 0, v2
	v_lshrrev_b32_e32 v8, 2, v8
	v_cmp_eq_u32_e64 s0, 3, v11
	v_and_b32_e32 v12, 7, v6
	v_cndmask_b32_e64 v2, 0, 1, vcc_lo
	v_cmp_ne_u32_e32 vcc_lo, 0, v4
	v_lshrrev_b32_e32 v6, 2, v6
	v_cmp_lt_i32_e64 s1, 5, v12
	v_cmp_eq_u32_e64 s2, 3, v12
	v_cndmask_b32_e64 v4, 0, 1, vcc_lo
	v_cmp_lt_i32_e32 vcc_lo, 5, v11
	v_lshl_or_b32 v2, v2, 9, 0x7c00
	v_lshl_or_b32 v4, v4, 9, 0x7c00
	s_or_b32 vcc_lo, s0, vcc_lo
	v_add_co_ci_u32_e32 v8, vcc_lo, 0, v8, vcc_lo
	s_or_b32 vcc_lo, s2, s1
	v_add_co_ci_u32_e32 v6, vcc_lo, 0, v6, vcc_lo
	v_cmp_gt_i32_e32 vcc_lo, 31, v7
	v_cndmask_b32_e32 v8, 0x7c00, v8, vcc_lo
	v_cmp_gt_i32_e32 vcc_lo, 31, v10
	v_cndmask_b32_e32 v6, 0x7c00, v6, vcc_lo
	v_cmp_eq_u32_e32 vcc_lo, 0x40f, v7
	v_cndmask_b32_e32 v2, v8, v2, vcc_lo
	v_cmp_eq_u32_e32 vcc_lo, 0x40f, v10
	v_and_or_b32 v2, 0x8000, v3, v2
	v_cndmask_b32_e32 v4, v6, v4, vcc_lo
	v_add_co_u32 v0, vcc_lo, v0, s6
	v_add_co_ci_u32_e32 v1, vcc_lo, s7, v1, vcc_lo
	v_and_or_b32 v3, 0x8000, v5, v4
	v_and_b32_e32 v2, 0xffff, v2
	v_lshl_or_b32 v2, v3, 16, v2
	s_waitcnt lgkmcnt(0)
	v_lshrrev_b32_e32 v3, 16, v9
	global_store_dword v[0:1], v2, off
	global_load_dword v2, v[47:48], off offset:1756
	s_waitcnt vmcnt(0)
	v_mul_f16_sdwa v4, v3, v2 dst_sel:DWORD dst_unused:UNUSED_PAD src0_sel:DWORD src1_sel:WORD_1
	v_mul_f16_sdwa v5, v9, v2 dst_sel:DWORD dst_unused:UNUSED_PAD src0_sel:DWORD src1_sel:WORD_1
	v_fmac_f16_e32 v4, v9, v2
	v_fma_f16 v2, v2, v3, -v5
	v_cvt_f32_f16_e32 v3, v4
	v_cvt_f32_f16_e32 v4, v2
	v_cvt_f64_f32_e32 v[2:3], v3
	v_cvt_f64_f32_e32 v[4:5], v4
	v_mul_f64 v[2:3], v[2:3], s[4:5]
	v_mul_f64 v[4:5], v[4:5], s[4:5]
	v_and_or_b32 v2, 0x1ff, v3, v2
	v_and_or_b32 v4, 0x1ff, v5, v4
	v_lshrrev_b32_e32 v6, 8, v3
	v_bfe_u32 v7, v3, 20, 11
	v_lshrrev_b32_e32 v8, 8, v5
	v_cmp_ne_u32_e32 vcc_lo, 0, v2
	v_bfe_u32 v9, v5, 20, 11
	v_lshrrev_b32_e32 v3, 16, v3
	v_sub_nc_u32_e32 v10, 0x3f1, v7
	v_add_nc_u32_e32 v7, 0xfffffc10, v7
	v_cndmask_b32_e64 v2, 0, 1, vcc_lo
	v_cmp_ne_u32_e32 vcc_lo, 0, v4
	v_lshrrev_b32_e32 v5, 16, v5
	v_and_or_b32 v2, 0xffe, v6, v2
	v_cndmask_b32_e64 v4, 0, 1, vcc_lo
	v_sub_nc_u32_e32 v6, 0x3f1, v9
	v_add_nc_u32_e32 v9, 0xfffffc10, v9
	v_and_or_b32 v4, 0xffe, v8, v4
	v_med3_i32 v8, v10, 0, 13
	v_or_b32_e32 v10, 0x1000, v2
	v_med3_i32 v6, v6, 0, 13
	v_or_b32_e32 v11, 0x1000, v4
	v_lshrrev_b32_e32 v12, v8, v10
	v_lshrrev_b32_e32 v13, v6, v11
	v_lshlrev_b32_e32 v8, v8, v12
	v_lshlrev_b32_e32 v6, v6, v13
	v_cmp_ne_u32_e32 vcc_lo, v8, v10
	v_lshl_or_b32 v10, v7, 12, v2
	v_cndmask_b32_e64 v8, 0, 1, vcc_lo
	v_cmp_ne_u32_e32 vcc_lo, v6, v11
	v_lshl_or_b32 v11, v9, 12, v4
	v_or_b32_e32 v8, v12, v8
	v_cndmask_b32_e64 v6, 0, 1, vcc_lo
	v_cmp_gt_i32_e32 vcc_lo, 1, v7
	v_or_b32_e32 v6, v13, v6
	v_cndmask_b32_e32 v8, v10, v8, vcc_lo
	v_cmp_gt_i32_e32 vcc_lo, 1, v9
	v_and_b32_e32 v10, 7, v8
	v_cndmask_b32_e32 v6, v11, v6, vcc_lo
	v_cmp_ne_u32_e32 vcc_lo, 0, v2
	v_lshrrev_b32_e32 v8, 2, v8
	v_cmp_eq_u32_e64 s0, 3, v10
	v_and_b32_e32 v11, 7, v6
	v_cndmask_b32_e64 v2, 0, 1, vcc_lo
	v_cmp_ne_u32_e32 vcc_lo, 0, v4
	v_lshrrev_b32_e32 v6, 2, v6
	v_cmp_lt_i32_e64 s1, 5, v11
	v_cmp_eq_u32_e64 s2, 3, v11
	v_cndmask_b32_e64 v4, 0, 1, vcc_lo
	v_cmp_lt_i32_e32 vcc_lo, 5, v10
	v_lshl_or_b32 v2, v2, 9, 0x7c00
	v_lshl_or_b32 v4, v4, 9, 0x7c00
	s_or_b32 vcc_lo, s0, vcc_lo
	v_add_co_ci_u32_e32 v8, vcc_lo, 0, v8, vcc_lo
	s_or_b32 vcc_lo, s2, s1
	v_add_co_ci_u32_e32 v6, vcc_lo, 0, v6, vcc_lo
	v_cmp_gt_i32_e32 vcc_lo, 31, v7
	v_cndmask_b32_e32 v8, 0x7c00, v8, vcc_lo
	v_cmp_gt_i32_e32 vcc_lo, 31, v9
	v_cndmask_b32_e32 v6, 0x7c00, v6, vcc_lo
	v_cmp_eq_u32_e32 vcc_lo, 0x40f, v7
	v_cndmask_b32_e32 v2, v8, v2, vcc_lo
	v_cmp_eq_u32_e32 vcc_lo, 0x40f, v9
	v_and_or_b32 v2, 0x8000, v3, v2
	v_cndmask_b32_e32 v4, v6, v4, vcc_lo
	v_add_co_u32 v0, vcc_lo, v0, s6
	v_add_co_ci_u32_e32 v1, vcc_lo, s7, v1, vcc_lo
	v_and_or_b32 v3, 0x8000, v5, v4
	v_and_b32_e32 v2, 0xffff, v2
	v_lshl_or_b32 v2, v3, 16, v2
	global_store_dword v[0:1], v2, off
.LBB0_31:
	s_endpgm
	.section	.rodata,"a",@progbits
	.p2align	6, 0x0
	.amdhsa_kernel bluestein_single_back_len2000_dim1_half_op_CI_CI
		.amdhsa_group_segment_fixed_size 8000
		.amdhsa_private_segment_fixed_size 0
		.amdhsa_kernarg_size 104
		.amdhsa_user_sgpr_count 6
		.amdhsa_user_sgpr_private_segment_buffer 1
		.amdhsa_user_sgpr_dispatch_ptr 0
		.amdhsa_user_sgpr_queue_ptr 0
		.amdhsa_user_sgpr_kernarg_segment_ptr 1
		.amdhsa_user_sgpr_dispatch_id 0
		.amdhsa_user_sgpr_flat_scratch_init 0
		.amdhsa_user_sgpr_private_segment_size 0
		.amdhsa_wavefront_size32 1
		.amdhsa_uses_dynamic_stack 0
		.amdhsa_system_sgpr_private_segment_wavefront_offset 0
		.amdhsa_system_sgpr_workgroup_id_x 1
		.amdhsa_system_sgpr_workgroup_id_y 0
		.amdhsa_system_sgpr_workgroup_id_z 0
		.amdhsa_system_sgpr_workgroup_info 0
		.amdhsa_system_vgpr_workitem_id 0
		.amdhsa_next_free_vgpr 162
		.amdhsa_next_free_sgpr 16
		.amdhsa_reserve_vcc 1
		.amdhsa_reserve_flat_scratch 0
		.amdhsa_float_round_mode_32 0
		.amdhsa_float_round_mode_16_64 0
		.amdhsa_float_denorm_mode_32 3
		.amdhsa_float_denorm_mode_16_64 3
		.amdhsa_dx10_clamp 1
		.amdhsa_ieee_mode 1
		.amdhsa_fp16_overflow 0
		.amdhsa_workgroup_processor_mode 1
		.amdhsa_memory_ordered 1
		.amdhsa_forward_progress 0
		.amdhsa_shared_vgpr_count 0
		.amdhsa_exception_fp_ieee_invalid_op 0
		.amdhsa_exception_fp_denorm_src 0
		.amdhsa_exception_fp_ieee_div_zero 0
		.amdhsa_exception_fp_ieee_overflow 0
		.amdhsa_exception_fp_ieee_underflow 0
		.amdhsa_exception_fp_ieee_inexact 0
		.amdhsa_exception_int_div_zero 0
	.end_amdhsa_kernel
	.text
.Lfunc_end0:
	.size	bluestein_single_back_len2000_dim1_half_op_CI_CI, .Lfunc_end0-bluestein_single_back_len2000_dim1_half_op_CI_CI
                                        ; -- End function
	.section	.AMDGPU.csdata,"",@progbits
; Kernel info:
; codeLenInByte = 33304
; NumSgprs: 18
; NumVgprs: 162
; ScratchSize: 0
; MemoryBound: 0
; FloatMode: 240
; IeeeMode: 1
; LDSByteSize: 8000 bytes/workgroup (compile time only)
; SGPRBlocks: 2
; VGPRBlocks: 20
; NumSGPRsForWavesPerEU: 18
; NumVGPRsForWavesPerEU: 162
; Occupancy: 5
; WaveLimiterHint : 1
; COMPUTE_PGM_RSRC2:SCRATCH_EN: 0
; COMPUTE_PGM_RSRC2:USER_SGPR: 6
; COMPUTE_PGM_RSRC2:TRAP_HANDLER: 0
; COMPUTE_PGM_RSRC2:TGID_X_EN: 1
; COMPUTE_PGM_RSRC2:TGID_Y_EN: 0
; COMPUTE_PGM_RSRC2:TGID_Z_EN: 0
; COMPUTE_PGM_RSRC2:TIDIG_COMP_CNT: 0
	.text
	.p2alignl 6, 3214868480
	.fill 48, 4, 3214868480
	.type	__hip_cuid_e85fd772d2b93cf9,@object ; @__hip_cuid_e85fd772d2b93cf9
	.section	.bss,"aw",@nobits
	.globl	__hip_cuid_e85fd772d2b93cf9
__hip_cuid_e85fd772d2b93cf9:
	.byte	0                               ; 0x0
	.size	__hip_cuid_e85fd772d2b93cf9, 1

	.ident	"AMD clang version 19.0.0git (https://github.com/RadeonOpenCompute/llvm-project roc-6.4.0 25133 c7fe45cf4b819c5991fe208aaa96edf142730f1d)"
	.section	".note.GNU-stack","",@progbits
	.addrsig
	.addrsig_sym __hip_cuid_e85fd772d2b93cf9
	.amdgpu_metadata
---
amdhsa.kernels:
  - .args:
      - .actual_access:  read_only
        .address_space:  global
        .offset:         0
        .size:           8
        .value_kind:     global_buffer
      - .actual_access:  read_only
        .address_space:  global
        .offset:         8
        .size:           8
        .value_kind:     global_buffer
      - .actual_access:  read_only
        .address_space:  global
        .offset:         16
        .size:           8
        .value_kind:     global_buffer
      - .actual_access:  read_only
        .address_space:  global
        .offset:         24
        .size:           8
        .value_kind:     global_buffer
      - .actual_access:  read_only
        .address_space:  global
        .offset:         32
        .size:           8
        .value_kind:     global_buffer
      - .offset:         40
        .size:           8
        .value_kind:     by_value
      - .address_space:  global
        .offset:         48
        .size:           8
        .value_kind:     global_buffer
      - .address_space:  global
        .offset:         56
        .size:           8
        .value_kind:     global_buffer
      - .address_space:  global
        .offset:         64
        .size:           8
        .value_kind:     global_buffer
      - .address_space:  global
        .offset:         72
        .size:           8
        .value_kind:     global_buffer
      - .offset:         80
        .size:           4
        .value_kind:     by_value
      - .address_space:  global
        .offset:         88
        .size:           8
        .value_kind:     global_buffer
      - .address_space:  global
        .offset:         96
        .size:           8
        .value_kind:     global_buffer
    .group_segment_fixed_size: 8000
    .kernarg_segment_align: 8
    .kernarg_segment_size: 104
    .language:       OpenCL C
    .language_version:
      - 2
      - 0
    .max_flat_workgroup_size: 125
    .name:           bluestein_single_back_len2000_dim1_half_op_CI_CI
    .private_segment_fixed_size: 0
    .sgpr_count:     18
    .sgpr_spill_count: 0
    .symbol:         bluestein_single_back_len2000_dim1_half_op_CI_CI.kd
    .uniform_work_group_size: 1
    .uses_dynamic_stack: false
    .vgpr_count:     162
    .vgpr_spill_count: 0
    .wavefront_size: 32
    .workgroup_processor_mode: 1
amdhsa.target:   amdgcn-amd-amdhsa--gfx1030
amdhsa.version:
  - 1
  - 2
...

	.end_amdgpu_metadata
